;; amdgpu-corpus repo=ROCm/rocFFT kind=compiled arch=gfx950 opt=O3
	.text
	.amdgcn_target "amdgcn-amd-amdhsa--gfx950"
	.amdhsa_code_object_version 6
	.protected	bluestein_single_back_len975_dim1_sp_op_CI_CI ; -- Begin function bluestein_single_back_len975_dim1_sp_op_CI_CI
	.globl	bluestein_single_back_len975_dim1_sp_op_CI_CI
	.p2align	8
	.type	bluestein_single_back_len975_dim1_sp_op_CI_CI,@function
bluestein_single_back_len975_dim1_sp_op_CI_CI: ; @bluestein_single_back_len975_dim1_sp_op_CI_CI
; %bb.0:
	s_load_dwordx4 s[12:15], s[0:1], 0x28
	v_mul_u32_u24_e32 v1, 0x691, v0
	v_lshrrev_b32_e32 v2, 16, v1
	v_mad_u64_u32 v[46:47], s[2:3], s2, 3, v[2:3]
	v_mov_b32_e32 v155, 0
	v_mov_b32_e32 v47, v155
	s_waitcnt lgkmcnt(0)
	v_cmp_gt_u64_e32 vcc, s[12:13], v[46:47]
	s_and_saveexec_b64 s[2:3], vcc
	s_cbranch_execz .LBB0_23
; %bb.1:
	s_load_dwordx4 s[4:7], s[0:1], 0x18
	s_load_dwordx2 s[12:13], s[0:1], 0x0
	v_mul_lo_u16_e32 v1, 39, v2
	v_sub_u16_e32 v154, v0, v1
	v_mov_b32_e32 v4, s14
	s_waitcnt lgkmcnt(0)
	s_load_dwordx4 s[8:11], s[4:5], 0x0
	v_mov_b32_e32 v5, s15
	v_lshlrev_b32_e32 v144, 3, v154
	global_load_dwordx2 v[58:59], v144, s[12:13]
	v_mov_b32_e32 v145, v155
	s_waitcnt lgkmcnt(0)
	v_mad_u64_u32 v[0:1], s[2:3], s10, v46, 0
	v_mov_b32_e32 v2, v1
	v_mad_u64_u32 v[2:3], s[2:3], s11, v46, v[2:3]
	v_mov_b32_e32 v1, v2
	;; [unrolled: 2-line block ×3, first 2 shown]
	v_mad_u64_u32 v[6:7], s[2:3], s9, v154, v[6:7]
	s_mul_i32 s2, s9, 0x4b
	s_mul_hi_u32 s3, s8, 0x4b
	v_mov_b32_e32 v3, v6
	v_lshl_add_u64 v[0:1], v[0:1], 3, v[4:5]
	s_add_i32 s3, s3, s2
	s_mul_i32 s2, s8, 0x4b
	v_lshl_add_u64 v[0:1], v[2:3], 3, v[0:1]
	s_lshl_b64 s[2:3], s[2:3], 3
	global_load_dwordx2 v[4:5], v[0:1], off
	v_lshl_add_u64 v[0:1], v[0:1], 0, s[2:3]
	global_load_dwordx2 v[6:7], v[0:1], off
	global_load_dwordx2 v[56:57], v144, s[12:13] offset:600
	v_lshl_add_u64 v[0:1], v[0:1], 0, s[2:3]
	global_load_dwordx2 v[54:55], v144, s[12:13] offset:1200
	global_load_dwordx2 v[8:9], v[0:1], off
	v_lshl_add_u64 v[0:1], v[0:1], 0, s[2:3]
	global_load_dwordx2 v[10:11], v[0:1], off
	global_load_dwordx2 v[52:53], v144, s[12:13] offset:1800
	v_lshl_add_u64 v[0:1], v[0:1], 0, s[2:3]
	global_load_dwordx2 v[12:13], v[0:1], off
	global_load_dwordx2 v[48:49], v144, s[12:13] offset:2400
	v_lshl_add_u64 v[0:1], v[0:1], 0, s[2:3]
	v_lshl_add_u64 v[20:21], s[12:13], 0, v[144:145]
	global_load_dwordx2 v[14:15], v[0:1], off
	v_lshl_add_u64 v[0:1], v[0:1], 0, s[2:3]
	s_movk_i32 s4, 0x1000
	global_load_dwordx2 v[50:51], v144, s[12:13] offset:3000
	global_load_dwordx2 v[16:17], v[0:1], off
	global_load_dwordx2 v[42:43], v144, s[12:13] offset:3600
	v_lshl_add_u64 v[2:3], v[0:1], 0, s[2:3]
	v_add_co_u32_e32 v0, vcc, s4, v20
	global_load_dwordx2 v[18:19], v[2:3], off
	s_nop 0
	v_addc_co_u32_e32 v1, vcc, 0, v21, vcc
	global_load_dwordx2 v[44:45], v[0:1], off offset:104
	v_accvgpr_write_b32 a0, v20
	v_lshl_add_u64 v[2:3], v[2:3], 0, s[2:3]
	v_accvgpr_write_b32 a1, v21
	global_load_dwordx2 v[20:21], v[2:3], off
	global_load_dwordx2 v[40:41], v[0:1], off offset:704
	v_lshl_add_u64 v[2:3], v[2:3], 0, s[2:3]
	global_load_dwordx2 v[22:23], v[2:3], off
	global_load_dwordx2 v[38:39], v[0:1], off offset:1304
	v_lshl_add_u64 v[2:3], v[2:3], 0, s[2:3]
	global_load_dwordx2 v[36:37], v[0:1], off offset:1904
	global_load_dwordx2 v[24:25], v[2:3], off
	v_lshl_add_u64 v[2:3], v[2:3], 0, s[2:3]
	global_load_dwordx2 v[26:27], v[2:3], off
	global_load_dwordx2 v[34:35], v[0:1], off offset:2504
	global_load_dwordx2 v[32:33], v[0:1], off offset:3104
	v_lshl_add_u64 v[2:3], v[2:3], 0, s[2:3]
	global_load_dwordx2 v[28:29], v[2:3], off
	s_mov_b32 s4, 0xaaaaaaab
	v_mul_hi_u32 v30, v46, s4
	v_lshrrev_b32_e32 v30, 1, v30
	v_lshl_add_u32 v30, v30, 1, v30
	v_sub_u32_e32 v30, v46, v30
	v_mul_u32_u24_e32 v145, 0x3cf, v30
	v_lshlrev_b32_e32 v30, 3, v145
	v_mov_b32_e32 v240, v30
	v_add_u32_e32 v64, v144, v30
	s_load_dwordx2 s[10:11], s[0:1], 0x38
	v_accvgpr_write_b32 a18, v46
	s_load_dwordx4 s[4:7], s[6:7], 0x0
	v_cmp_gt_u16_e32 vcc, 36, v154
	s_waitcnt vmcnt(25)
	v_accvgpr_write_b32 a30, v58
	v_accvgpr_write_b32 a31, v59
	s_waitcnt vmcnt(24)
	v_mul_f32_e32 v30, v5, v59
	v_mul_f32_e32 v31, v4, v59
	v_fmac_f32_e32 v30, v4, v58
	v_fma_f32 v31, v5, v58, -v31
	s_waitcnt vmcnt(22)
	v_mul_f32_e32 v4, v7, v57
	v_mul_f32_e32 v5, v6, v57
	v_fmac_f32_e32 v4, v6, v56
	v_fma_f32 v5, v7, v56, -v5
	s_waitcnt vmcnt(20)
	v_mul_f32_e32 v6, v9, v55
	v_mul_f32_e32 v7, v8, v55
	ds_write2_b64 v64, v[30:31], v[4:5] offset1:75
	s_waitcnt vmcnt(18)
	v_mul_f32_e32 v4, v11, v53
	v_mul_f32_e32 v5, v10, v53
	v_fmac_f32_e32 v6, v8, v54
	v_fma_f32 v7, v9, v54, -v7
	v_fmac_f32_e32 v4, v10, v52
	v_fma_f32 v5, v11, v52, -v5
	ds_write2_b64 v64, v[6:7], v[4:5] offset0:150 offset1:225
	s_waitcnt vmcnt(16)
	v_mul_f32_e32 v4, v12, v49
	v_mul_f32_e32 v8, v13, v49
	v_fma_f32 v9, v13, v48, -v4
	s_waitcnt vmcnt(14)
	v_mul_f32_e32 v6, v15, v51
	v_mul_f32_e32 v4, v14, v51
	v_fmac_f32_e32 v8, v12, v48
	v_fmac_f32_e32 v6, v14, v50
	v_fma_f32 v7, v15, v50, -v4
	v_add_u32_e32 v4, 0x800, v64
	s_waitcnt vmcnt(12)
	v_mul_f32_e32 v5, v16, v43
	ds_write2_b64 v4, v[8:9], v[6:7] offset0:44 offset1:119
	v_mul_f32_e32 v6, v17, v43
	v_fma_f32 v7, v17, v42, -v5
	s_waitcnt vmcnt(10)
	v_mul_f32_e32 v8, v19, v45
	v_mul_f32_e32 v5, v18, v45
	v_fmac_f32_e32 v6, v16, v42
	v_fmac_f32_e32 v8, v18, v44
	v_fma_f32 v9, v19, v44, -v5
	v_add_u32_e32 v5, 0xc00, v64
	ds_write2_b64 v5, v[6:7], v[8:9] offset0:66 offset1:141
	s_waitcnt vmcnt(8)
	v_mul_f32_e32 v6, v20, v41
	v_mul_f32_e32 v8, v21, v41
	v_fma_f32 v9, v21, v40, -v6
	s_waitcnt vmcnt(6)
	v_mul_f32_e32 v10, v23, v39
	v_mul_f32_e32 v6, v22, v39
	v_fmac_f32_e32 v8, v20, v40
	v_fmac_f32_e32 v10, v22, v38
	v_fma_f32 v11, v23, v38, -v6
	v_add_u32_e32 v6, 0x1000, v64
	s_waitcnt vmcnt(4)
	v_mul_f32_e32 v7, v24, v37
	ds_write2_b64 v6, v[8:9], v[10:11] offset0:88 offset1:163
	v_mul_f32_e32 v8, v25, v37
	v_fma_f32 v9, v25, v36, -v7
	s_waitcnt vmcnt(2)
	v_mul_f32_e32 v10, v27, v35
	v_mul_f32_e32 v7, v26, v35
	v_fmac_f32_e32 v8, v24, v36
	v_fmac_f32_e32 v10, v26, v34
	v_fma_f32 v11, v27, v34, -v7
	v_add_u32_e32 v7, 0x1400, v64
	v_accvgpr_write_b32 a28, v56
	v_accvgpr_write_b32 a26, v54
	;; [unrolled: 1-line block ×11, first 2 shown]
	ds_write2_b64 v7, v[8:9], v[10:11] offset0:110 offset1:185
	s_waitcnt vmcnt(0)
	v_mul_f32_e32 v8, v29, v33
	v_mul_f32_e32 v9, v28, v33
	v_accvgpr_write_b32 a2, v32
	v_accvgpr_write_b32 a29, v57
	;; [unrolled: 1-line block ×12, first 2 shown]
	v_fmac_f32_e32 v8, v28, v32
	v_accvgpr_write_b32 a3, v33
	v_fma_f32 v9, v29, v32, -v9
	ds_write_b64 v64, v[8:9] offset:7200
	s_and_saveexec_b64 s[14:15], vcc
	s_cbranch_execz .LBB0_3
; %bb.2:
	v_mov_b32_e32 v8, 0xffffe518
	s_mulk_i32 s9, 0xe518
	v_mad_u64_u32 v[2:3], s[16:17], s8, v8, v[2:3]
	s_sub_i32 s8, s9, s8
	v_accvgpr_read_b32 v35, a1
	v_add_u32_e32 v3, s8, v3
	v_accvgpr_read_b32 v34, a0
	global_load_dwordx2 v[8:9], v[2:3], off
	global_load_dwordx2 v[10:11], v[34:35], off offset:312
	v_lshl_add_u64 v[2:3], v[2:3], 0, s[2:3]
	global_load_dwordx2 v[12:13], v[2:3], off
	global_load_dwordx2 v[14:15], v[34:35], off offset:912
	v_lshl_add_u64 v[2:3], v[2:3], 0, s[2:3]
	global_load_dwordx2 v[16:17], v[2:3], off
	global_load_dwordx2 v[18:19], v[34:35], off offset:1512
	global_load_dwordx2 v[20:21], v[34:35], off offset:2112
	v_lshl_add_u64 v[2:3], v[2:3], 0, s[2:3]
	global_load_dwordx2 v[22:23], v[2:3], off
	v_lshl_add_u64 v[2:3], v[2:3], 0, s[2:3]
	global_load_dwordx2 v[24:25], v[2:3], off
	global_load_dwordx2 v[26:27], v[34:35], off offset:2712
	v_lshl_add_u64 v[2:3], v[2:3], 0, s[2:3]
	global_load_dwordx2 v[28:29], v[2:3], off
	global_load_dwordx2 v[30:31], v[34:35], off offset:3312
	v_lshl_add_u64 v[2:3], v[2:3], 0, s[2:3]
	global_load_dwordx2 v[32:33], v[2:3], off
	s_nop 0
	global_load_dwordx2 v[34:35], v[34:35], off offset:3912
	s_nop 0
	global_load_dwordx2 v[36:37], v[0:1], off offset:416
	v_lshl_add_u64 v[2:3], v[2:3], 0, s[2:3]
	global_load_dwordx2 v[38:39], v[2:3], off
	v_lshl_add_u64 v[2:3], v[2:3], 0, s[2:3]
	global_load_dwordx2 v[40:41], v[2:3], off
	global_load_dwordx2 v[42:43], v[0:1], off offset:1016
	v_lshl_add_u64 v[2:3], v[2:3], 0, s[2:3]
	global_load_dwordx2 v[44:45], v[2:3], off
	global_load_dwordx2 v[46:47], v[0:1], off offset:1616
	;; [unrolled: 3-line block ×3, first 2 shown]
	global_load_dwordx2 v[52:53], v[0:1], off offset:2816
	v_lshl_add_u64 v[2:3], v[2:3], 0, s[2:3]
	global_load_dwordx2 v[54:55], v[2:3], off
	global_load_dwordx2 v[56:57], v[0:1], off offset:3416
	v_lshl_add_u64 v[0:1], v[2:3], 0, s[2:3]
	global_load_dwordx2 v[0:1], v[0:1], off
	v_add_u32_e32 v58, 0x400, v64
	s_waitcnt vmcnt(24)
	v_mul_f32_e32 v2, v9, v11
	v_mul_f32_e32 v3, v8, v11
	v_fmac_f32_e32 v2, v8, v10
	v_fma_f32 v3, v9, v10, -v3
	s_waitcnt vmcnt(22)
	v_mul_f32_e32 v8, v13, v15
	v_mul_f32_e32 v9, v12, v15
	v_fmac_f32_e32 v8, v12, v14
	v_fma_f32 v9, v13, v14, -v9
	s_waitcnt vmcnt(20)
	v_mul_f32_e32 v10, v17, v19
	v_mul_f32_e32 v11, v16, v19
	ds_write2_b64 v64, v[2:3], v[8:9] offset0:39 offset1:114
	s_waitcnt vmcnt(18)
	v_mul_f32_e32 v2, v23, v21
	v_mul_f32_e32 v3, v22, v21
	v_fmac_f32_e32 v10, v16, v18
	v_fma_f32 v11, v17, v18, -v11
	v_fmac_f32_e32 v2, v22, v20
	v_fma_f32 v3, v23, v20, -v3
	s_waitcnt vmcnt(16)
	v_mul_f32_e32 v8, v25, v27
	v_mul_f32_e32 v9, v24, v27
	ds_write2_b64 v58, v[10:11], v[2:3] offset0:61 offset1:136
	s_waitcnt vmcnt(14)
	v_mul_f32_e32 v2, v29, v31
	v_mul_f32_e32 v3, v28, v31
	v_fmac_f32_e32 v8, v24, v26
	v_fma_f32 v9, v25, v26, -v9
	;; [unrolled: 11-line block ×5, first 2 shown]
	v_fmac_f32_e32 v2, v54, v52
	v_fma_f32 v3, v55, v52, -v3
	v_add_u32_e32 v8, 0x1800, v64
	ds_write2_b64 v8, v[10:11], v[2:3] offset0:21 offset1:96
	s_waitcnt vmcnt(0)
	v_mul_f32_e32 v2, v1, v57
	v_fmac_f32_e32 v2, v0, v56
	v_mul_f32_e32 v0, v0, v57
	v_fma_f32 v3, v1, v56, -v0
	ds_write_b64 v64, v[2:3] offset:7512
.LBB0_3:
	s_or_b64 exec, exec, s[14:15]
	s_waitcnt lgkmcnt(0)
	s_barrier
	ds_read2_b64 v[20:23], v64 offset1:75
	ds_read2_b64 v[44:47], v64 offset0:150 offset1:225
	ds_read2_b64 v[40:43], v4 offset0:44 offset1:119
	;; [unrolled: 1-line block ×5, first 2 shown]
	ds_read_b64 v[88:89], v64 offset:7200
	s_load_dwordx2 s[8:9], s[0:1], 0x8
	v_mov_b64_e32 v[0:1], 0
                                        ; implicit-def: $vgpr6
                                        ; implicit-def: $vgpr12
                                        ; implicit-def: $vgpr10
                                        ; implicit-def: $vgpr24
                                        ; implicit-def: $vgpr18
                                        ; implicit-def: $vgpr66
	s_and_saveexec_b64 s[0:1], vcc
	s_cbranch_execz .LBB0_5
; %bb.4:
	v_add_u32_e32 v4, 0x400, v64
	ds_read2_b64 v[16:19], v4 offset0:61 offset1:136
	v_add_u32_e32 v4, 0x800, v64
	ds_read2_b64 v[8:11], v4 offset0:83 offset1:158
	v_add_u32_e32 v4, 0xc00, v64
	v_add_u32_e32 v12, 0x1000, v64
	v_add_u32_e32 v24, 0x1800, v64
	ds_read2_b64 v[0:3], v64 offset0:39 offset1:114
	ds_read2_b64 v[4:7], v4 offset0:105 offset1:180
	;; [unrolled: 1-line block ×4, first 2 shown]
	ds_read_b64 v[66:67], v64 offset:7512
.LBB0_5:
	s_or_b64 exec, exec, s[0:1]
	s_waitcnt lgkmcnt(0)
	v_pk_add_f32 v[90:91], v[20:21], v[22:23]
	v_pk_add_f32 v[120:121], v[30:31], v[44:45]
	v_pk_add_f32 v[94:95], v[44:45], v[30:31] neg_lo:[0,1] neg_hi:[0,1]
	v_pk_add_f32 v[44:45], v[90:91], v[44:45]
	v_pk_add_f32 v[116:117], v[34:35], v[40:41]
	v_pk_add_f32 v[44:45], v[44:45], v[46:47]
	v_pk_add_f32 v[98:99], v[40:41], v[34:35] neg_lo:[0,1] neg_hi:[0,1]
	v_pk_add_f32 v[40:41], v[44:45], v[40:41]
	;; [unrolled: 4-line block ×3, first 2 shown]
	v_pk_add_f32 v[114:115], v[32:33], v[42:43]
	v_pk_add_f32 v[36:37], v[36:37], v[38:39]
	v_pk_add_f32 v[102:103], v[42:43], v[32:33] neg_lo:[0,1] neg_hi:[0,1]
	v_pk_add_f32 v[168:169], v[2:3], v[66:67] neg_lo:[0,1] neg_hi:[0,1]
	s_mov_b32 s38, 0xbeedf032
	v_pk_add_f32 v[32:33], v[36:37], v[32:33]
	v_pk_add_f32 v[122:123], v[88:89], v[22:23]
	v_pk_add_f32 v[92:93], v[22:23], v[88:89] neg_lo:[0,1] neg_hi:[0,1]
	v_pk_add_f32 v[62:63], v[66:67], v[2:3]
	v_pk_add_f32 v[60:61], v[16:17], v[26:27] neg_lo:[0,1] neg_hi:[0,1]
	s_mov_b32 s14, 0x3f62ad3f
	v_pk_mul_f32 v[70:71], v[168:169], s[38:39] op_sel_hi:[1,0]
	s_mov_b32 s24, 0xbf52af12
	v_pk_add_f32 v[32:33], v[32:33], v[34:35]
	v_pk_add_f32 v[118:119], v[28:29], v[46:47]
	v_pk_add_f32 v[96:97], v[46:47], v[28:29] neg_lo:[0,1] neg_hi:[0,1]
	v_pk_add_f32 v[58:59], v[26:27], v[16:17]
	v_pk_fma_f32 v[68:69], v[62:63], s[14:15], v[70:71] op_sel:[0,0,1] op_sel_hi:[1,0,0]
	v_pk_fma_f32 v[70:71], v[62:63], s[14:15], v[70:71] op_sel:[0,0,1] op_sel_hi:[1,0,0] neg_lo:[0,0,1] neg_hi:[0,0,1]
	s_mov_b32 s2, 0x3f116cb1
	v_pk_mul_f32 v[74:75], v[60:61], s[24:25] op_sel_hi:[1,0]
	v_pk_add_f32 v[28:29], v[32:33], v[28:29]
	v_mov_b32_e32 v33, v123
	v_mov_b32_e32 v123, v92
	s_mov_b32 s15, s38
	v_pk_add_f32 v[56:57], v[18:19], v[24:25] neg_lo:[0,1] neg_hi:[0,1]
	v_pk_fma_f32 v[72:73], v[58:59], s[2:3], v[74:75] op_sel:[0,0,1] op_sel_hi:[1,0,0]
	v_pk_fma_f32 v[74:75], v[58:59], s[2:3], v[74:75] op_sel:[0,0,1] op_sel_hi:[1,0,0] neg_lo:[0,0,1] neg_hi:[0,0,1]
	s_mov_b32 s26, 0xbf7e222b
	v_pk_add_f32 v[28:29], v[28:29], v[30:31]
	v_mov_b32_e32 v32, v93
	s_mov_b32 s39, s14
	v_pk_mul_f32 v[36:37], v[122:123], s[14:15]
	v_mov_b32_e32 v39, v121
	v_mov_b32_e32 v121, v94
	s_mov_b32 s3, s24
	v_pk_add_f32 v[54:55], v[24:25], v[18:19]
	s_mov_b32 s0, 0x3df6dbef
	v_pk_mul_f32 v[78:79], v[56:57], s[26:27] op_sel_hi:[1,0]
	v_pk_add_f32 v[124:125], v[28:29], v[88:89]
	v_pk_fma_f32 v[28:29], v[32:33], s[38:39], v[36:37] neg_lo:[1,0,0] neg_hi:[1,0,0]
	v_pk_fma_f32 v[34:35], v[32:33], s[38:39], v[36:37]
	v_mov_b32_e32 v38, v95
	s_mov_b32 s25, s2
	v_pk_mul_f32 v[44:45], v[120:121], s[2:3]
	v_pk_add_f32 v[52:53], v[8:9], v[14:15] neg_lo:[0,1] neg_hi:[0,1]
	v_pk_fma_f32 v[76:77], v[54:55], s[0:1], v[78:79] op_sel:[0,0,1] op_sel_hi:[1,0,0]
	v_pk_fma_f32 v[78:79], v[54:55], s[0:1], v[78:79] op_sel:[0,0,1] op_sel_hi:[1,0,0] neg_lo:[0,0,1] neg_hi:[0,0,1]
	s_mov_b32 s18, 0xbf6f5d39
	v_mov_b32_e32 v29, v35
	v_pk_fma_f32 v[30:31], v[38:39], s[24:25], v[44:45] neg_lo:[1,0,0] neg_hi:[1,0,0]
	v_pk_fma_f32 v[40:41], v[38:39], s[24:25], v[44:45]
	v_mov_b32_e32 v89, v119
	v_mov_b32_e32 v119, v96
	s_mov_b32 s1, s26
	v_pk_add_f32 v[50:51], v[14:15], v[8:9]
	s_mov_b32 s16, 0xbeb58ec6
	v_pk_mul_f32 v[82:83], v[52:53], s[18:19] op_sel_hi:[1,0]
	v_pk_add_f32 v[28:29], v[20:21], v[28:29]
	v_mov_b32_e32 v31, v41
	v_mov_b32_e32 v88, v97
	s_mov_b32 s27, s0
	v_pk_mul_f32 v[92:93], v[118:119], s[0:1]
	v_pk_add_f32 v[48:49], v[10:11], v[12:13] neg_lo:[0,1] neg_hi:[0,1]
	v_pk_fma_f32 v[80:81], v[50:51], s[16:17], v[82:83] op_sel:[0,0,1] op_sel_hi:[1,0,0]
	v_pk_fma_f32 v[82:83], v[50:51], s[16:17], v[82:83] op_sel:[0,0,1] op_sel_hi:[1,0,0] neg_lo:[0,0,1] neg_hi:[0,0,1]
	s_mov_b32 s22, 0xbf29c268
	v_pk_add_f32 v[28:29], v[30:31], v[28:29]
	v_pk_fma_f32 v[30:31], v[88:89], s[26:27], v[92:93] neg_lo:[1,0,0] neg_hi:[1,0,0]
	v_pk_fma_f32 v[90:91], v[88:89], s[26:27], v[92:93]
	v_mov_b32_e32 v95, v117
	v_mov_b32_e32 v117, v98
	s_mov_b32 s17, s18
	v_pk_add_f32 v[22:23], v[12:13], v[10:11]
	s_mov_b32 s20, 0xbf3f9e67
	v_pk_mul_f32 v[86:87], v[48:49], s[22:23] op_sel_hi:[1,0]
	v_mov_b32_e32 v31, v91
	v_mov_b32_e32 v94, v99
	s_mov_b32 s19, s16
	v_pk_mul_f32 v[98:99], v[116:117], s[16:17]
	v_pk_fma_f32 v[84:85], v[22:23], s[20:21], v[86:87] op_sel:[0,0,1] op_sel_hi:[1,0,0]
	v_pk_fma_f32 v[86:87], v[22:23], s[20:21], v[86:87] op_sel:[0,0,1] op_sel_hi:[1,0,0] neg_lo:[0,0,1] neg_hi:[0,0,1]
	v_pk_add_f32 v[28:29], v[30:31], v[28:29]
	v_pk_fma_f32 v[30:31], v[94:95], s[18:19], v[98:99] neg_lo:[1,0,0] neg_hi:[1,0,0]
	v_pk_fma_f32 v[96:97], v[94:95], s[18:19], v[98:99]
	v_mov_b32_e32 v101, v115
	v_mov_b32_e32 v115, v102
	s_mov_b32 s21, s22
	v_mov_b32_e32 v31, v97
	v_mov_b32_e32 v100, v103
	s_mov_b32 s23, s20
	v_pk_mul_f32 v[104:105], v[114:115], s[20:21]
	v_pk_add_f32 v[28:29], v[30:31], v[28:29]
	v_pk_fma_f32 v[30:31], v[100:101], s[22:23], v[104:105] neg_lo:[1,0,0] neg_hi:[1,0,0]
	v_pk_fma_f32 v[102:103], v[100:101], s[22:23], v[104:105]
	s_mov_b32 s30, 0xbe750f2a
	v_mov_b32_e32 v31, v103
	v_pk_add_f32 v[126:127], v[30:31], v[28:29]
	v_pk_add_f32 v[30:31], v[4:5], v[6:7] neg_lo:[0,1] neg_hi:[0,1]
	v_pk_add_f32 v[28:29], v[6:7], v[4:5]
	s_mov_b32 s28, 0xbf788fa5
	v_pk_mul_f32 v[46:47], v[30:31], s[30:31] op_sel_hi:[1,0]
	v_mov_b32_e32 v107, v113
	v_mov_b32_e32 v113, v108
	v_pk_fma_f32 v[42:43], v[28:29], s[28:29], v[46:47] op_sel:[0,0,1] op_sel_hi:[1,0,0]
	v_pk_fma_f32 v[46:47], v[28:29], s[28:29], v[46:47] op_sel:[0,0,1] op_sel_hi:[1,0,0] neg_lo:[0,0,1] neg_hi:[0,0,1]
	s_mov_b32 s29, s30
	v_mov_b32_e32 v106, v109
	s_mov_b32 s31, s28
	v_pk_mul_f32 v[110:111], v[112:113], s[28:29]
	v_mul_lo_u16_e32 v35, 13, v154
	v_pk_fma_f32 v[128:129], v[106:107], s[30:31], v[110:111] neg_lo:[1,0,0] neg_hi:[1,0,0]
	v_pk_fma_f32 v[108:109], v[106:107], s[30:31], v[110:111]
	v_lshl_add_u32 v65, v35, 3, v240
	v_mov_b32_e32 v129, v109
	v_pk_add_f32 v[126:127], v[128:129], v[126:127]
	s_barrier
	ds_write2_b64 v65, v[124:125], v[126:127] offset1:1
	v_pk_mul_f32 v[126:127], v[122:123], s[2:3]
	v_pk_mul_f32 v[130:131], v[120:121], s[16:17]
	v_pk_fma_f32 v[128:129], v[32:33], s[24:25], v[126:127] neg_lo:[1,0,0] neg_hi:[1,0,0]
	v_pk_fma_f32 v[124:125], v[32:33], s[24:25], v[126:127]
	v_pk_fma_f32 v[134:135], v[38:39], s[18:19], v[130:131] neg_lo:[1,0,0] neg_hi:[1,0,0]
	v_mov_b32_e32 v129, v125
	v_pk_add_f32 v[132:133], v[20:21], v[128:129]
	v_pk_fma_f32 v[128:129], v[38:39], s[18:19], v[130:131]
	s_mov_b32 s40, 0x3f29c268
	v_mov_b32_e32 v135, v129
	v_pk_add_f32 v[136:137], v[134:135], v[132:133]
	v_pk_mul_f32 v[134:135], v[118:119], s[28:29]
	s_mov_b32 s42, s20
	v_pk_fma_f32 v[138:139], v[88:89], s[30:31], v[134:135] neg_lo:[1,0,0] neg_hi:[1,0,0]
	v_pk_fma_f32 v[132:133], v[88:89], s[30:31], v[134:135]
	s_mov_b32 s43, s40
	v_mov_b32_e32 v139, v133
	v_pk_add_f32 v[140:141], v[138:139], v[136:137]
	s_mov_b32 s41, s20
	v_pk_mul_f32 v[138:139], v[116:117], s[42:43]
	s_mov_b32 s34, 0x3f7e222b
	v_pk_fma_f32 v[142:143], v[94:95], s[40:41], v[138:139] neg_lo:[1,0,0] neg_hi:[1,0,0]
	v_pk_fma_f32 v[136:137], v[94:95], s[40:41], v[138:139]
	s_mov_b32 s48, s0
	v_mov_b32_e32 v143, v137
	s_mov_b32 s49, s34
	v_pk_add_f32 v[146:147], v[142:143], v[140:141]
	s_mov_b32 s35, s0
	v_pk_mul_f32 v[142:143], v[114:115], s[48:49]
	s_mov_b32 s36, 0x3eedf032
	v_pk_fma_f32 v[148:149], v[100:101], s[34:35], v[142:143] neg_lo:[1,0,0] neg_hi:[1,0,0]
	v_pk_fma_f32 v[140:141], v[100:101], s[34:35], v[142:143]
	s_mov_b32 s15, s36
	v_mov_b32_e32 v149, v141
	v_pk_add_f32 v[150:151], v[148:149], v[146:147]
	s_mov_b32 s37, s14
	v_pk_mul_f32 v[148:149], v[112:113], s[14:15]
	v_accvgpr_write_b32 a10, v154
	v_pk_fma_f32 v[152:153], v[106:107], s[36:37], v[148:149] neg_lo:[1,0,0] neg_hi:[1,0,0]
	v_pk_fma_f32 v[146:147], v[106:107], s[36:37], v[148:149]
	v_accvgpr_write_b32 a11, v155
	v_mov_b32_e32 v153, v147
	v_pk_add_f32 v[170:171], v[152:153], v[150:151]
	v_pk_mul_f32 v[152:153], v[122:123], s[0:1]
	v_pk_mul_f32 v[156:157], v[120:121], s[28:29]
	v_pk_fma_f32 v[154:155], v[32:33], s[26:27], v[152:153] neg_lo:[1,0,0] neg_hi:[1,0,0]
	v_pk_fma_f32 v[150:151], v[32:33], s[26:27], v[152:153]
	v_pk_fma_f32 v[160:161], v[38:39], s[30:31], v[156:157] neg_lo:[1,0,0] neg_hi:[1,0,0]
	v_mov_b32_e32 v155, v151
	v_pk_add_f32 v[158:159], v[20:21], v[154:155]
	v_pk_fma_f32 v[154:155], v[38:39], s[30:31], v[156:157]
	s_mov_b32 s46, 0x3f6f5d39
	v_mov_b32_e32 v161, v155
	s_mov_b32 s44, s16
	s_mov_b32 s45, s46
	v_pk_add_f32 v[162:163], v[160:161], v[158:159]
	s_mov_b32 s47, s16
	v_pk_mul_f32 v[160:161], v[118:119], s[44:45]
	v_pk_mul_f32 v[174:175], v[114:115], s[2:3]
	v_pk_fma_f32 v[164:165], v[88:89], s[46:47], v[160:161] neg_lo:[1,0,0] neg_hi:[1,0,0]
	v_pk_fma_f32 v[158:159], v[88:89], s[46:47], v[160:161]
	v_pk_fma_f32 v[176:177], v[100:101], s[24:25], v[174:175] neg_lo:[1,0,0] neg_hi:[1,0,0]
	v_mov_b32_e32 v165, v159
	v_pk_add_f32 v[166:167], v[164:165], v[162:163]
	v_pk_mul_f32 v[164:165], v[116:117], s[14:15]
	v_pk_mul_f32 v[182:183], v[120:121], s[42:43]
	v_pk_fma_f32 v[172:173], v[94:95], s[36:37], v[164:165] neg_lo:[1,0,0] neg_hi:[1,0,0]
	v_pk_fma_f32 v[162:163], v[94:95], s[36:37], v[164:165]
	v_pk_fma_f32 v[184:185], v[38:39], s[40:41], v[182:183] neg_lo:[1,0,0] neg_hi:[1,0,0]
	v_mov_b32_e32 v173, v163
	v_pk_add_f32 v[172:173], v[172:173], v[166:167]
	v_pk_fma_f32 v[166:167], v[100:101], s[24:25], v[174:175]
	v_pk_fma_f32 v[186:187], v[38:39], s[40:41], v[182:183]
	v_mov_b32_e32 v177, v167
	v_pk_add_f32 v[172:173], v[176:177], v[172:173]
	v_pk_mul_f32 v[176:177], v[112:113], s[20:21]
	v_mov_b32_e32 v185, v187
	v_pk_fma_f32 v[178:179], v[106:107], s[22:23], v[176:177] neg_lo:[1,0,0] neg_hi:[1,0,0]
	v_pk_fma_f32 v[180:181], v[106:107], s[22:23], v[176:177]
	s_mov_b32 s44, 0x3e750f2a
	v_mov_b32_e32 v179, v181
	v_pk_add_f32 v[172:173], v[178:179], v[172:173]
	ds_write2_b64 v65, v[170:171], v[172:173] offset0:2 offset1:3
	v_pk_mul_f32 v[170:171], v[122:123], s[16:17]
	s_mov_b32 s50, s28
	v_pk_fma_f32 v[172:173], v[32:33], s[18:19], v[170:171] neg_lo:[1,0,0] neg_hi:[1,0,0]
	v_pk_fma_f32 v[178:179], v[32:33], s[18:19], v[170:171]
	s_mov_b32 s51, s44
	v_mov_b32_e32 v173, v179
	v_pk_add_f32 v[172:173], v[20:21], v[172:173]
	s_mov_b32 s45, s28
	v_pk_add_f32 v[172:173], v[184:185], v[172:173]
	v_pk_mul_f32 v[184:185], v[118:119], s[14:15]
	s_mov_b32 s42, 0x3f52af12
	v_pk_fma_f32 v[188:189], v[88:89], s[36:37], v[184:185] neg_lo:[1,0,0] neg_hi:[1,0,0]
	v_pk_fma_f32 v[190:191], v[88:89], s[36:37], v[184:185]
	s_mov_b32 s52, s2
	v_mov_b32_e32 v189, v191
	v_pk_add_f32 v[172:173], v[188:189], v[172:173]
	v_pk_mul_f32 v[188:189], v[116:117], s[0:1]
	s_mov_b32 s53, s42
	v_pk_fma_f32 v[192:193], v[94:95], s[26:27], v[188:189] neg_lo:[1,0,0] neg_hi:[1,0,0]
	v_pk_fma_f32 v[194:195], v[94:95], s[26:27], v[188:189]
	s_mov_b32 s43, s2
	v_mov_b32_e32 v193, v195
	v_pk_add_f32 v[172:173], v[192:193], v[172:173]
	v_pk_mul_f32 v[192:193], v[114:115], s[50:51]
	v_pk_mul_f32 v[208:209], v[120:121], s[48:49]
	v_pk_fma_f32 v[196:197], v[100:101], s[44:45], v[192:193] neg_lo:[1,0,0] neg_hi:[1,0,0]
	v_pk_fma_f32 v[198:199], v[100:101], s[44:45], v[192:193]
	v_pk_fma_f32 v[210:211], v[38:39], s[34:35], v[208:209] neg_lo:[1,0,0] neg_hi:[1,0,0]
	v_mov_b32_e32 v197, v199
	v_pk_add_f32 v[172:173], v[196:197], v[172:173]
	v_pk_mul_f32 v[196:197], v[112:113], s[52:53]
	v_pk_fma_f32 v[212:213], v[38:39], s[34:35], v[208:209]
	v_pk_fma_f32 v[200:201], v[106:107], s[42:43], v[196:197] neg_lo:[1,0,0] neg_hi:[1,0,0]
	v_pk_fma_f32 v[202:203], v[106:107], s[42:43], v[196:197]
	v_mov_b32_e32 v211, v213
	v_mov_b32_e32 v201, v203
	v_pk_add_f32 v[172:173], v[200:201], v[172:173]
	v_pk_mul_f32 v[200:201], v[122:123], s[20:21]
	v_pk_mul_f32 v[122:123], v[122:123], s[28:29]
	v_pk_fma_f32 v[204:205], v[32:33], s[22:23], v[200:201] neg_lo:[1,0,0] neg_hi:[1,0,0]
	v_pk_fma_f32 v[206:207], v[32:33], s[22:23], v[200:201]
	v_pk_mul_f32 v[120:121], v[120:121], s[14:15]
	v_mov_b32_e32 v205, v207
	v_pk_add_f32 v[204:205], v[20:21], v[204:205]
	v_pk_fma_f32 v[230:231], v[38:39], s[36:37], v[120:121]
	v_pk_add_f32 v[204:205], v[210:211], v[204:205]
	v_pk_mul_f32 v[210:211], v[118:119], s[2:3]
	v_pk_mul_f32 v[118:119], v[118:119], s[20:21]
	v_pk_fma_f32 v[214:215], v[88:89], s[24:25], v[210:211] neg_lo:[1,0,0] neg_hi:[1,0,0]
	v_pk_fma_f32 v[216:217], v[88:89], s[24:25], v[210:211]
	v_pk_fma_f32 v[232:233], v[88:89], s[22:23], v[118:119]
	v_mov_b32_e32 v215, v217
	v_pk_add_f32 v[204:205], v[214:215], v[204:205]
	v_pk_mul_f32 v[214:215], v[116:117], s[50:51]
	v_pk_mul_f32 v[116:117], v[116:117], s[52:53]
	v_pk_fma_f32 v[218:219], v[94:95], s[44:45], v[214:215] neg_lo:[1,0,0] neg_hi:[1,0,0]
	v_pk_fma_f32 v[220:221], v[94:95], s[44:45], v[214:215]
	v_pk_fma_f32 v[234:235], v[94:95], s[42:43], v[116:117]
	v_mov_b32_e32 v219, v221
	;; [unrolled: 7-line block ×4, first 2 shown]
	v_pk_add_f32 v[204:205], v[226:227], v[204:205]
	ds_write2_b64 v65, v[172:173], v[204:205] offset0:4 offset1:5
	v_pk_fma_f32 v[172:173], v[32:33], s[30:31], v[122:123] neg_lo:[1,0,0] neg_hi:[1,0,0]
	v_pk_fma_f32 v[204:205], v[32:33], s[30:31], v[122:123]
	v_pk_fma_f32 v[226:227], v[38:39], s[36:37], v[120:121] neg_lo:[1,0,0] neg_hi:[1,0,0]
	v_mov_b32_e32 v173, v205
	v_pk_add_f32 v[172:173], v[20:21], v[172:173]
	v_mov_b32_e32 v227, v231
	v_pk_add_f32 v[172:173], v[226:227], v[172:173]
	v_pk_fma_f32 v[226:227], v[88:89], s[22:23], v[118:119] neg_lo:[1,0,0] neg_hi:[1,0,0]
	v_pk_fma_f32 v[122:123], v[32:33], s[30:31], v[122:123] neg_lo:[0,0,1] neg_hi:[0,0,1]
	v_mov_b32_e32 v227, v233
	v_pk_add_f32 v[172:173], v[226:227], v[172:173]
	v_pk_fma_f32 v[226:227], v[94:95], s[42:43], v[116:117] neg_lo:[1,0,0] neg_hi:[1,0,0]
	v_mov_b32_e32 v205, v123
	v_pk_fma_f32 v[120:121], v[38:39], s[36:37], v[120:121] neg_lo:[0,0,1] neg_hi:[0,0,1]
	v_mov_b32_e32 v227, v235
	v_mov_b32_e32 v231, v121
	v_pk_add_f32 v[120:121], v[20:21], v[204:205]
	v_pk_fma_f32 v[118:119], v[88:89], s[22:23], v[118:119] neg_lo:[0,0,1] neg_hi:[0,0,1]
	v_pk_add_f32 v[172:173], v[226:227], v[172:173]
	v_pk_fma_f32 v[226:227], v[100:101], s[18:19], v[114:115] neg_lo:[1,0,0] neg_hi:[1,0,0]
	v_pk_add_f32 v[120:121], v[230:231], v[120:121]
	v_mov_b32_e32 v233, v119
	v_pk_fma_f32 v[116:117], v[94:95], s[42:43], v[116:117] neg_lo:[0,0,1] neg_hi:[0,0,1]
	v_mov_b32_e32 v227, v237
	v_pk_add_f32 v[118:119], v[232:233], v[120:121]
	v_mov_b32_e32 v235, v117
	v_pk_fma_f32 v[114:115], v[100:101], s[18:19], v[114:115] neg_lo:[0,0,1] neg_hi:[0,0,1]
	v_pk_add_f32 v[172:173], v[226:227], v[172:173]
	v_pk_fma_f32 v[226:227], v[106:107], s[34:35], v[112:113] neg_lo:[1,0,0] neg_hi:[1,0,0]
	v_pk_add_f32 v[116:117], v[234:235], v[118:119]
	v_mov_b32_e32 v237, v115
	v_pk_fma_f32 v[112:113], v[106:107], s[34:35], v[112:113] neg_lo:[0,0,1] neg_hi:[0,0,1]
	v_mov_b32_e32 v227, v239
	v_pk_add_f32 v[114:115], v[236:237], v[116:117]
	v_mov_b32_e32 v239, v113
	v_pk_add_f32 v[112:113], v[238:239], v[114:115]
	v_pk_fma_f32 v[114:115], v[88:89], s[24:25], v[210:211] neg_lo:[0,0,1] neg_hi:[0,0,1]
	v_pk_add_f32 v[172:173], v[226:227], v[172:173]
	v_mov_b32_e32 v217, v115
	v_pk_fma_f32 v[114:115], v[94:95], s[44:45], v[214:215] neg_lo:[0,0,1] neg_hi:[0,0,1]
	ds_write2_b64 v65, v[172:173], v[112:113] offset0:6 offset1:7
	v_mov_b32_e32 v221, v115
	v_pk_fma_f32 v[114:115], v[100:101], s[36:37], v[218:219] neg_lo:[0,0,1] neg_hi:[0,0,1]
	v_pk_fma_f32 v[112:113], v[32:33], s[22:23], v[200:201] neg_lo:[0,0,1] neg_hi:[0,0,1]
	v_mov_b32_e32 v225, v115
	v_pk_fma_f32 v[114:115], v[106:107], s[18:19], v[222:223] neg_lo:[0,0,1] neg_hi:[0,0,1]
	v_mov_b32_e32 v207, v113
	v_mov_b32_e32 v229, v115
	v_pk_fma_f32 v[114:115], v[32:33], s[18:19], v[170:171] neg_lo:[0,0,1] neg_hi:[0,0,1]
	v_pk_fma_f32 v[112:113], v[38:39], s[34:35], v[208:209] neg_lo:[0,0,1] neg_hi:[0,0,1]
	v_mov_b32_e32 v179, v115
	v_pk_fma_f32 v[114:115], v[38:39], s[40:41], v[182:183] neg_lo:[0,0,1] neg_hi:[0,0,1]
	v_mov_b32_e32 v213, v113
	v_pk_add_f32 v[112:113], v[20:21], v[206:207]
	v_mov_b32_e32 v187, v115
	v_pk_add_f32 v[114:115], v[20:21], v[178:179]
	v_pk_fma_f32 v[116:117], v[88:89], s[36:37], v[184:185] neg_lo:[0,0,1] neg_hi:[0,0,1]
	v_pk_add_f32 v[112:113], v[212:213], v[112:113]
	v_pk_add_f32 v[114:115], v[186:187], v[114:115]
	v_mov_b32_e32 v191, v117
	v_pk_fma_f32 v[116:117], v[94:95], s[26:27], v[188:189] neg_lo:[0,0,1] neg_hi:[0,0,1]
	v_pk_add_f32 v[112:113], v[216:217], v[112:113]
	v_pk_add_f32 v[114:115], v[190:191], v[114:115]
	v_mov_b32_e32 v195, v117
	;; [unrolled: 4-line block ×4, first 2 shown]
	v_pk_add_f32 v[112:113], v[228:229], v[112:113]
	v_pk_add_f32 v[114:115], v[202:203], v[114:115]
	ds_write2_b64 v65, v[112:113], v[114:115] offset0:8 offset1:9
	v_pk_fma_f32 v[114:115], v[88:89], s[46:47], v[160:161] neg_lo:[0,0,1] neg_hi:[0,0,1]
	v_pk_fma_f32 v[112:113], v[32:33], s[26:27], v[152:153] neg_lo:[0,0,1] neg_hi:[0,0,1]
	v_mov_b32_e32 v159, v115
	v_pk_fma_f32 v[114:115], v[94:95], s[36:37], v[164:165] neg_lo:[0,0,1] neg_hi:[0,0,1]
	v_mov_b32_e32 v151, v113
	v_mov_b32_e32 v163, v115
	v_pk_fma_f32 v[114:115], v[100:101], s[24:25], v[174:175] neg_lo:[0,0,1] neg_hi:[0,0,1]
	v_pk_fma_f32 v[112:113], v[38:39], s[30:31], v[156:157] neg_lo:[0,0,1] neg_hi:[0,0,1]
	v_mov_b32_e32 v167, v115
	v_pk_fma_f32 v[114:115], v[106:107], s[22:23], v[176:177] neg_lo:[0,0,1] neg_hi:[0,0,1]
	v_mov_b32_e32 v155, v113
	v_mov_b32_e32 v181, v115
	v_pk_fma_f32 v[114:115], v[32:33], s[24:25], v[126:127] neg_lo:[0,0,1] neg_hi:[0,0,1]
	v_pk_add_f32 v[112:113], v[20:21], v[150:151]
	v_mov_b32_e32 v125, v115
	v_pk_fma_f32 v[114:115], v[38:39], s[18:19], v[130:131] neg_lo:[0,0,1] neg_hi:[0,0,1]
	v_pk_fma_f32 v[116:117], v[88:89], s[30:31], v[134:135] neg_lo:[0,0,1] neg_hi:[0,0,1]
	v_mov_b32_e32 v129, v115
	v_pk_add_f32 v[114:115], v[20:21], v[124:125]
	v_pk_add_f32 v[112:113], v[154:155], v[112:113]
	;; [unrolled: 1-line block ×3, first 2 shown]
	v_mov_b32_e32 v133, v117
	v_pk_fma_f32 v[116:117], v[94:95], s[40:41], v[138:139] neg_lo:[0,0,1] neg_hi:[0,0,1]
	v_pk_add_f32 v[112:113], v[158:159], v[112:113]
	v_pk_add_f32 v[114:115], v[132:133], v[114:115]
	v_mov_b32_e32 v137, v117
	v_pk_fma_f32 v[116:117], v[100:101], s[34:35], v[142:143] neg_lo:[0,0,1] neg_hi:[0,0,1]
	v_pk_add_f32 v[112:113], v[162:163], v[112:113]
	v_pk_add_f32 v[114:115], v[136:137], v[114:115]
	v_mov_b32_e32 v141, v117
	v_pk_fma_f32 v[116:117], v[106:107], s[36:37], v[148:149] neg_lo:[0,0,1] neg_hi:[0,0,1]
	v_pk_fma_f32 v[32:33], v[32:33], s[38:39], v[36:37] neg_lo:[0,0,1] neg_hi:[0,0,1]
	v_pk_add_f32 v[112:113], v[166:167], v[112:113]
	v_pk_add_f32 v[114:115], v[140:141], v[114:115]
	v_mov_b32_e32 v147, v117
	v_mov_b32_e32 v35, v33
	v_pk_fma_f32 v[32:33], v[38:39], s[24:25], v[44:45] neg_lo:[0,0,1] neg_hi:[0,0,1]
	v_pk_add_f32 v[112:113], v[180:181], v[112:113]
	v_pk_add_f32 v[114:115], v[146:147], v[114:115]
	;; [unrolled: 1-line block ×3, first 2 shown]
	v_mov_b32_e32 v41, v33
	v_pk_fma_f32 v[32:33], v[88:89], s[26:27], v[92:93] neg_lo:[0,0,1] neg_hi:[0,0,1]
	ds_write2_b64 v65, v[112:113], v[114:115] offset0:10 offset1:11
	v_mov_b32_e32 v112, v68
	v_mov_b32_e32 v113, v71
	v_pk_add_f32 v[20:21], v[40:41], v[20:21]
	v_mov_b32_e32 v91, v33
	v_pk_fma_f32 v[32:33], v[94:95], s[18:19], v[98:99] neg_lo:[0,0,1] neg_hi:[0,0,1]
	v_pk_add_f32 v[112:113], v[112:113], v[0:1]
	v_mov_b32_e32 v114, v72
	v_mov_b32_e32 v115, v75
	v_pk_add_f32 v[20:21], v[90:91], v[20:21]
	v_mov_b32_e32 v97, v33
	v_pk_fma_f32 v[32:33], v[100:101], s[22:23], v[104:105] neg_lo:[0,0,1] neg_hi:[0,0,1]
	v_accvgpr_read_b32 v155, a11
	v_pk_add_f32 v[112:113], v[114:115], v[112:113]
	v_mov_b32_e32 v114, v76
	v_mov_b32_e32 v115, v79
	v_pk_add_f32 v[20:21], v[96:97], v[20:21]
	v_mov_b32_e32 v103, v33
	v_pk_fma_f32 v[32:33], v[106:107], s[30:31], v[110:111] neg_lo:[0,0,1] neg_hi:[0,0,1]
	v_accvgpr_read_b32 v154, a10
	v_pk_add_f32 v[112:113], v[114:115], v[112:113]
	v_mov_b32_e32 v114, v80
	v_mov_b32_e32 v115, v83
	v_pk_add_f32 v[20:21], v[102:103], v[20:21]
	v_mov_b32_e32 v109, v33
	v_lshl_add_u64 v[116:117], v[154:155], 0, 39
	v_pk_add_f32 v[112:113], v[114:115], v[112:113]
	v_mov_b32_e32 v114, v84
	v_mov_b32_e32 v115, v87
	v_pk_add_f32 v[20:21], v[108:109], v[20:21]
	v_pk_add_f32 v[112:113], v[114:115], v[112:113]
	v_mov_b32_e32 v114, v42
	v_mov_b32_e32 v115, v47
	ds_write_b64 v65, v[20:21] offset:96
	v_mul_u32_u24_e32 v20, 13, v116
	v_pk_add_f32 v[126:127], v[114:115], v[112:113]
	v_accvgpr_write_b32 a68, v20
	s_and_saveexec_b64 s[38:39], vcc
	s_cbranch_execz .LBB0_7
; %bb.6:
	v_pk_add_f32 v[2:3], v[2:3], v[0:1]
	v_mov_b32_e32 v71, v69
	v_pk_add_f32 v[2:3], v[16:17], v[2:3]
	v_mov_b32_e32 v75, v73
	;; [unrolled: 2-line block ×5, first 2 shown]
	v_pk_add_f32 v[2:3], v[4:5], v[2:3]
	v_pk_add_f32 v[4:5], v[70:71], v[0:1]
	;; [unrolled: 1-line block ×9, first 2 shown]
	v_accvgpr_read_b32 v20, a68
	v_pk_add_f32 v[2:3], v[26:27], v[2:3]
	v_pk_add_f32 v[4:5], v[86:87], v[4:5]
	v_mov_b32_e32 v47, v43
	v_lshl_add_u32 v132, v20, 3, v240
	v_pk_add_f32 v[2:3], v[66:67], v[2:3]
	v_pk_add_f32 v[4:5], v[46:47], v[4:5]
	ds_write2_b64 v132, v[2:3], v[4:5] offset1:1
	v_pk_mul_f32 v[4:5], v[168:169], s[24:25] op_sel_hi:[1,0]
	v_pk_mul_f32 v[8:9], v[60:61], s[18:19] op_sel_hi:[1,0]
	v_pk_fma_f32 v[2:3], v[62:63], s[2:3], v[4:5] op_sel:[0,0,1] op_sel_hi:[1,0,0] neg_lo:[0,0,1] neg_hi:[0,0,1]
	v_pk_fma_f32 v[4:5], v[62:63], s[2:3], v[4:5] op_sel:[0,0,1] op_sel_hi:[1,0,0]
	v_mov_b32_e32 v6, v2
	v_mov_b32_e32 v7, v5
	v_pk_add_f32 v[10:11], v[6:7], v[0:1]
	v_pk_fma_f32 v[6:7], v[58:59], s[16:17], v[8:9] op_sel:[0,0,1] op_sel_hi:[1,0,0] neg_lo:[0,0,1] neg_hi:[0,0,1]
	v_pk_fma_f32 v[8:9], v[58:59], s[16:17], v[8:9] op_sel:[0,0,1] op_sel_hi:[1,0,0]
	v_mov_b32_e32 v12, v6
	v_mov_b32_e32 v13, v9
	v_pk_add_f32 v[14:15], v[12:13], v[10:11]
	v_pk_mul_f32 v[12:13], v[56:57], s[30:31] op_sel_hi:[1,0]
	v_pk_mul_f32 v[40:41], v[60:61], s[30:31] op_sel_hi:[1,0]
	v_pk_fma_f32 v[10:11], v[54:55], s[28:29], v[12:13] op_sel:[0,0,1] op_sel_hi:[1,0,0] neg_lo:[0,0,1] neg_hi:[0,0,1]
	v_pk_fma_f32 v[12:13], v[54:55], s[28:29], v[12:13] op_sel:[0,0,1] op_sel_hi:[1,0,0]
	v_mov_b32_e32 v16, v10
	v_mov_b32_e32 v17, v13
	v_pk_add_f32 v[18:19], v[16:17], v[14:15]
	v_pk_mul_f32 v[16:17], v[52:53], s[40:41] op_sel_hi:[1,0]
	v_pk_fma_f32 v[42:43], v[58:59], s[28:29], v[40:41] op_sel:[0,0,1] op_sel_hi:[1,0,0] neg_lo:[0,0,1] neg_hi:[0,0,1]
	v_pk_fma_f32 v[14:15], v[50:51], s[20:21], v[16:17] op_sel:[0,0,1] op_sel_hi:[1,0,0] neg_lo:[0,0,1] neg_hi:[0,0,1]
	v_pk_fma_f32 v[16:17], v[50:51], s[20:21], v[16:17] op_sel:[0,0,1] op_sel_hi:[1,0,0]
	v_mov_b32_e32 v20, v14
	v_mov_b32_e32 v21, v17
	v_pk_add_f32 v[24:25], v[20:21], v[18:19]
	v_pk_mul_f32 v[20:21], v[48:49], s[34:35] op_sel_hi:[1,0]
	v_pk_fma_f32 v[40:41], v[58:59], s[28:29], v[40:41] op_sel:[0,0,1] op_sel_hi:[1,0,0]
	v_pk_fma_f32 v[18:19], v[22:23], s[0:1], v[20:21] op_sel:[0,0,1] op_sel_hi:[1,0,0] neg_lo:[0,0,1] neg_hi:[0,0,1]
	v_pk_fma_f32 v[20:21], v[22:23], s[0:1], v[20:21] op_sel:[0,0,1] op_sel_hi:[1,0,0]
	v_mov_b32_e32 v26, v18
	v_mov_b32_e32 v27, v21
	v_pk_add_f32 v[32:33], v[26:27], v[24:25]
	v_pk_mul_f32 v[26:27], v[30:31], s[36:37] op_sel_hi:[1,0]
	v_mov_b32_e32 v44, v42
	v_pk_fma_f32 v[24:25], v[28:29], s[14:15], v[26:27] op_sel:[0,0,1] op_sel_hi:[1,0,0] neg_lo:[0,0,1] neg_hi:[0,0,1]
	v_pk_fma_f32 v[26:27], v[28:29], s[14:15], v[26:27] op_sel:[0,0,1] op_sel_hi:[1,0,0]
	v_mov_b32_e32 v34, v24
	v_mov_b32_e32 v35, v27
	v_pk_add_f32 v[32:33], v[34:35], v[32:33]
	v_pk_mul_f32 v[34:35], v[168:169], s[26:27] op_sel_hi:[1,0]
	v_mov_b32_e32 v45, v41
	v_pk_fma_f32 v[36:37], v[62:63], s[0:1], v[34:35] op_sel:[0,0,1] op_sel_hi:[1,0,0] neg_lo:[0,0,1] neg_hi:[0,0,1]
	v_pk_fma_f32 v[34:35], v[62:63], s[0:1], v[34:35] op_sel:[0,0,1] op_sel_hi:[1,0,0]
	v_mov_b32_e32 v38, v36
	v_mov_b32_e32 v39, v35
	v_pk_add_f32 v[38:39], v[38:39], v[0:1]
	v_pk_mul_f32 v[80:81], v[60:61], s[40:41] op_sel_hi:[1,0]
	v_pk_add_f32 v[38:39], v[44:45], v[38:39]
	v_pk_mul_f32 v[44:45], v[56:57], s[46:47] op_sel_hi:[1,0]
	v_pk_fma_f32 v[82:83], v[58:59], s[20:21], v[80:81] op_sel:[0,0,1] op_sel_hi:[1,0,0] neg_lo:[0,0,1] neg_hi:[0,0,1]
	v_pk_fma_f32 v[46:47], v[54:55], s[16:17], v[44:45] op_sel:[0,0,1] op_sel_hi:[1,0,0] neg_lo:[0,0,1] neg_hi:[0,0,1]
	v_pk_fma_f32 v[44:45], v[54:55], s[16:17], v[44:45] op_sel:[0,0,1] op_sel_hi:[1,0,0]
	v_mov_b32_e32 v66, v46
	v_mov_b32_e32 v67, v45
	v_pk_add_f32 v[38:39], v[66:67], v[38:39]
	v_pk_mul_f32 v[66:67], v[52:53], s[36:37] op_sel_hi:[1,0]
	v_pk_fma_f32 v[80:81], v[58:59], s[20:21], v[80:81] op_sel:[0,0,1] op_sel_hi:[1,0,0]
	v_pk_fma_f32 v[68:69], v[50:51], s[14:15], v[66:67] op_sel:[0,0,1] op_sel_hi:[1,0,0] neg_lo:[0,0,1] neg_hi:[0,0,1]
	v_pk_fma_f32 v[66:67], v[50:51], s[14:15], v[66:67] op_sel:[0,0,1] op_sel_hi:[1,0,0]
	v_mov_b32_e32 v70, v68
	v_mov_b32_e32 v71, v67
	v_pk_add_f32 v[38:39], v[70:71], v[38:39]
	v_pk_mul_f32 v[70:71], v[48:49], s[24:25] op_sel_hi:[1,0]
	v_mov_b32_e32 v84, v82
	v_pk_fma_f32 v[72:73], v[22:23], s[2:3], v[70:71] op_sel:[0,0,1] op_sel_hi:[1,0,0] neg_lo:[0,0,1] neg_hi:[0,0,1]
	v_pk_fma_f32 v[70:71], v[22:23], s[2:3], v[70:71] op_sel:[0,0,1] op_sel_hi:[1,0,0]
	v_mov_b32_e32 v74, v72
	v_mov_b32_e32 v75, v71
	v_pk_add_f32 v[38:39], v[74:75], v[38:39]
	v_pk_mul_f32 v[74:75], v[30:31], s[22:23] op_sel_hi:[1,0]
	v_mov_b32_e32 v85, v81
	v_pk_fma_f32 v[76:77], v[28:29], s[20:21], v[74:75] op_sel:[0,0,1] op_sel_hi:[1,0,0] neg_lo:[0,0,1] neg_hi:[0,0,1]
	v_pk_fma_f32 v[74:75], v[28:29], s[20:21], v[74:75] op_sel:[0,0,1] op_sel_hi:[1,0,0]
	v_mov_b32_e32 v78, v76
	v_mov_b32_e32 v79, v75
	v_pk_add_f32 v[38:39], v[78:79], v[38:39]
	ds_write2_b64 v132, v[32:33], v[38:39] offset0:2 offset1:3
	v_pk_mul_f32 v[32:33], v[168:169], s[18:19] op_sel_hi:[1,0]
	v_pk_mul_f32 v[106:107], v[60:61], s[34:35] op_sel_hi:[1,0]
	v_pk_fma_f32 v[38:39], v[62:63], s[16:17], v[32:33] op_sel:[0,0,1] op_sel_hi:[1,0,0] neg_lo:[0,0,1] neg_hi:[0,0,1]
	v_pk_fma_f32 v[32:33], v[62:63], s[16:17], v[32:33] op_sel:[0,0,1] op_sel_hi:[1,0,0]
	v_mov_b32_e32 v78, v38
	v_mov_b32_e32 v79, v33
	v_pk_add_f32 v[78:79], v[78:79], v[0:1]
	v_pk_fma_f32 v[108:109], v[58:59], s[0:1], v[106:107] op_sel:[0,0,1] op_sel_hi:[1,0,0] neg_lo:[0,0,1] neg_hi:[0,0,1]
	v_pk_add_f32 v[78:79], v[84:85], v[78:79]
	v_pk_mul_f32 v[84:85], v[56:57], s[36:37] op_sel_hi:[1,0]
	v_pk_fma_f32 v[106:107], v[58:59], s[0:1], v[106:107] op_sel:[0,0,1] op_sel_hi:[1,0,0]
	v_pk_fma_f32 v[86:87], v[54:55], s[14:15], v[84:85] op_sel:[0,0,1] op_sel_hi:[1,0,0] neg_lo:[0,0,1] neg_hi:[0,0,1]
	v_pk_fma_f32 v[84:85], v[54:55], s[14:15], v[84:85] op_sel:[0,0,1] op_sel_hi:[1,0,0]
	v_mov_b32_e32 v88, v86
	v_mov_b32_e32 v89, v85
	v_pk_add_f32 v[78:79], v[88:89], v[78:79]
	v_pk_mul_f32 v[88:89], v[52:53], s[26:27] op_sel_hi:[1,0]
	v_mov_b32_e32 v110, v108
	v_pk_fma_f32 v[90:91], v[50:51], s[0:1], v[88:89] op_sel:[0,0,1] op_sel_hi:[1,0,0] neg_lo:[0,0,1] neg_hi:[0,0,1]
	v_pk_fma_f32 v[88:89], v[50:51], s[0:1], v[88:89] op_sel:[0,0,1] op_sel_hi:[1,0,0]
	v_mov_b32_e32 v92, v90
	v_mov_b32_e32 v93, v89
	v_pk_add_f32 v[78:79], v[92:93], v[78:79]
	v_pk_mul_f32 v[92:93], v[48:49], s[44:45] op_sel_hi:[1,0]
	v_mov_b32_e32 v111, v107
	v_pk_fma_f32 v[94:95], v[22:23], s[28:29], v[92:93] op_sel:[0,0,1] op_sel_hi:[1,0,0] neg_lo:[0,0,1] neg_hi:[0,0,1]
	v_pk_fma_f32 v[92:93], v[22:23], s[28:29], v[92:93] op_sel:[0,0,1] op_sel_hi:[1,0,0]
	v_mov_b32_e32 v96, v94
	v_mov_b32_e32 v97, v93
	v_pk_add_f32 v[78:79], v[96:97], v[78:79]
	v_pk_mul_f32 v[96:97], v[30:31], s[42:43] op_sel_hi:[1,0]
	v_pk_mul_f32 v[60:61], v[60:61], s[36:37] op_sel_hi:[1,0]
	v_pk_fma_f32 v[98:99], v[28:29], s[2:3], v[96:97] op_sel:[0,0,1] op_sel_hi:[1,0,0] neg_lo:[0,0,1] neg_hi:[0,0,1]
	v_pk_fma_f32 v[96:97], v[28:29], s[2:3], v[96:97] op_sel:[0,0,1] op_sel_hi:[1,0,0]
	v_mov_b32_e32 v100, v98
	v_mov_b32_e32 v101, v97
	v_pk_add_f32 v[78:79], v[100:101], v[78:79]
	v_pk_mul_f32 v[100:101], v[168:169], s[22:23] op_sel_hi:[1,0]
	v_mov_b32_e32 v33, v39
	v_pk_fma_f32 v[102:103], v[62:63], s[20:21], v[100:101] op_sel:[0,0,1] op_sel_hi:[1,0,0] neg_lo:[0,0,1] neg_hi:[0,0,1]
	v_pk_fma_f32 v[100:101], v[62:63], s[20:21], v[100:101] op_sel:[0,0,1] op_sel_hi:[1,0,0]
	v_mov_b32_e32 v104, v102
	v_mov_b32_e32 v105, v101
	v_pk_add_f32 v[104:105], v[104:105], v[0:1]
	v_mov_b32_e32 v101, v103
	v_pk_add_f32 v[104:105], v[110:111], v[104:105]
	v_pk_mul_f32 v[110:111], v[56:57], s[24:25] op_sel_hi:[1,0]
	v_pk_mul_f32 v[56:57], v[56:57], s[22:23] op_sel_hi:[1,0]
	v_pk_fma_f32 v[112:113], v[54:55], s[2:3], v[110:111] op_sel:[0,0,1] op_sel_hi:[1,0,0] neg_lo:[0,0,1] neg_hi:[0,0,1]
	v_pk_fma_f32 v[110:111], v[54:55], s[2:3], v[110:111] op_sel:[0,0,1] op_sel_hi:[1,0,0]
	v_mov_b32_e32 v114, v112
	v_mov_b32_e32 v115, v111
	v_pk_add_f32 v[104:105], v[114:115], v[104:105]
	v_pk_mul_f32 v[114:115], v[52:53], s[44:45] op_sel_hi:[1,0]
	v_pk_mul_f32 v[52:53], v[52:53], s[42:43] op_sel_hi:[1,0]
	v_pk_fma_f32 v[118:119], v[50:51], s[28:29], v[114:115] op_sel:[0,0,1] op_sel_hi:[1,0,0] neg_lo:[0,0,1] neg_hi:[0,0,1]
	v_pk_fma_f32 v[114:115], v[50:51], s[28:29], v[114:115] op_sel:[0,0,1] op_sel_hi:[1,0,0]
	v_mov_b32_e32 v120, v118
	v_mov_b32_e32 v121, v115
	v_pk_add_f32 v[104:105], v[120:121], v[104:105]
	v_pk_mul_f32 v[120:121], v[48:49], s[36:37] op_sel_hi:[1,0]
	v_pk_mul_f32 v[48:49], v[48:49], s[18:19] op_sel_hi:[1,0]
	v_pk_fma_f32 v[122:123], v[22:23], s[14:15], v[120:121] op_sel:[0,0,1] op_sel_hi:[1,0,0] neg_lo:[0,0,1] neg_hi:[0,0,1]
	v_pk_fma_f32 v[120:121], v[22:23], s[14:15], v[120:121] op_sel:[0,0,1] op_sel_hi:[1,0,0]
	v_mov_b32_e32 v124, v122
	v_mov_b32_e32 v125, v121
	v_pk_add_f32 v[104:105], v[124:125], v[104:105]
	v_pk_mul_f32 v[124:125], v[30:31], s[18:19] op_sel_hi:[1,0]
	v_pk_mul_f32 v[30:31], v[30:31], s[34:35] op_sel_hi:[1,0]
	v_pk_fma_f32 v[128:129], v[28:29], s[16:17], v[124:125] op_sel:[0,0,1] op_sel_hi:[1,0,0] neg_lo:[0,0,1] neg_hi:[0,0,1]
	v_pk_fma_f32 v[124:125], v[28:29], s[16:17], v[124:125] op_sel:[0,0,1] op_sel_hi:[1,0,0]
	v_mov_b32_e32 v130, v128
	v_mov_b32_e32 v131, v125
	v_pk_add_f32 v[104:105], v[130:131], v[104:105]
	ds_write2_b64 v132, v[78:79], v[104:105] offset0:4 offset1:5
	v_pk_mul_f32 v[78:79], v[168:169], s[30:31] op_sel_hi:[1,0]
	v_pk_fma_f32 v[130:131], v[58:59], s[14:15], v[60:61] op_sel:[0,0,1] op_sel_hi:[1,0,0] neg_lo:[0,0,1] neg_hi:[0,0,1]
	v_pk_fma_f32 v[104:105], v[62:63], s[28:29], v[78:79] op_sel:[0,0,1] op_sel_hi:[1,0,0] neg_lo:[0,0,1] neg_hi:[0,0,1]
	v_pk_fma_f32 v[62:63], v[62:63], s[28:29], v[78:79] op_sel:[0,0,1] op_sel_hi:[1,0,0]
	v_mov_b32_e32 v78, v104
	v_mov_b32_e32 v79, v63
	v_pk_fma_f32 v[58:59], v[58:59], s[14:15], v[60:61] op_sel:[0,0,1] op_sel_hi:[1,0,0]
	v_pk_add_f32 v[78:79], v[78:79], v[0:1]
	v_mov_b32_e32 v60, v130
	v_mov_b32_e32 v61, v59
	v_pk_add_f32 v[60:61], v[60:61], v[78:79]
	v_pk_fma_f32 v[78:79], v[54:55], s[20:21], v[56:57] op_sel:[0,0,1] op_sel_hi:[1,0,0] neg_lo:[0,0,1] neg_hi:[0,0,1]
	v_pk_fma_f32 v[54:55], v[54:55], s[20:21], v[56:57] op_sel:[0,0,1] op_sel_hi:[1,0,0]
	v_mov_b32_e32 v56, v78
	v_mov_b32_e32 v57, v55
	v_pk_add_f32 v[56:57], v[56:57], v[60:61]
	v_pk_fma_f32 v[60:61], v[50:51], s[2:3], v[52:53] op_sel:[0,0,1] op_sel_hi:[1,0,0] neg_lo:[0,0,1] neg_hi:[0,0,1]
	v_pk_fma_f32 v[50:51], v[50:51], s[2:3], v[52:53] op_sel:[0,0,1] op_sel_hi:[1,0,0]
	;; [unrolled: 5-line block ×4, first 2 shown]
	v_mov_b32_e32 v30, v52
	v_mov_b32_e32 v31, v29
	;; [unrolled: 1-line block ×3, first 2 shown]
	v_pk_add_f32 v[30:31], v[30:31], v[48:49]
	v_pk_add_f32 v[48:49], v[62:63], v[0:1]
	v_mov_b32_e32 v59, v131
	v_pk_add_f32 v[48:49], v[58:59], v[48:49]
	v_mov_b32_e32 v55, v79
	;; [unrolled: 2-line block ×5, first 2 shown]
	v_pk_add_f32 v[22:23], v[28:29], v[22:23]
	ds_write2_b64 v132, v[30:31], v[22:23] offset0:6 offset1:7
	v_pk_add_f32 v[22:23], v[100:101], v[0:1]
	v_mov_b32_e32 v107, v109
	v_pk_add_f32 v[28:29], v[32:33], v[0:1]
	v_mov_b32_e32 v81, v83
	;; [unrolled: 2-line block ×10, first 2 shown]
	v_pk_add_f32 v[22:23], v[124:125], v[22:23]
	v_pk_add_f32 v[28:29], v[96:97], v[28:29]
	v_mov_b32_e32 v35, v37
	v_mov_b32_e32 v5, v3
	ds_write2_b64 v132, v[22:23], v[28:29] offset0:8 offset1:9
	v_pk_add_f32 v[22:23], v[34:35], v[0:1]
	v_mov_b32_e32 v41, v43
	v_pk_add_f32 v[0:1], v[4:5], v[0:1]
	v_mov_b32_e32 v9, v7
	;; [unrolled: 2-line block ×10, first 2 shown]
	v_pk_add_f32 v[22:23], v[74:75], v[22:23]
	v_pk_add_f32 v[0:1], v[26:27], v[0:1]
	ds_write2_b64 v132, v[22:23], v[0:1] offset0:10 offset1:11
	ds_write_b64 v132, v[126:127] offset:96
.LBB0_7:
	s_or_b64 exec, exec, s[38:39]
	s_mov_b64 s[0:1], 0x9c
	v_lshl_add_u64 v[128:129], v[154:155], 0, s[0:1]
	s_movk_i32 s3, 0x4f
	v_mul_lo_u16_sdwa v0, v128, s3 dst_sel:DWORD dst_unused:UNUSED_PAD src0_sel:BYTE_0 src1_sel:DWORD
	v_lshrrev_b16_e32 v5, 10, v0
	v_mul_lo_u16_e32 v0, 13, v5
	v_mov_b32_e32 v4, 5
	v_sub_u16_e32 v6, v128, v0
	v_lshlrev_b32_sdwa v0, v4, v6 dst_sel:DWORD dst_unused:UNUSED_PAD src0_sel:DWORD src1_sel:BYTE_0
	s_waitcnt lgkmcnt(0)
	s_barrier
	global_load_dwordx4 v[32:35], v0, s[8:9]
	global_load_dwordx4 v[80:83], v0, s[8:9] offset:16
	s_mov_b64 s[0:1], 0x75
	v_lshl_add_u64 v[130:131], v[154:155], 0, s[0:1]
	v_mul_lo_u16_sdwa v7, v130, s3 dst_sel:DWORD dst_unused:UNUSED_PAD src0_sel:BYTE_0 src1_sel:DWORD
	v_lshrrev_b16_e32 v7, 10, v7
	v_mul_lo_u16_e32 v8, 13, v7
	v_sub_u16_e32 v8, v130, v8
	v_lshlrev_b32_sdwa v9, v4, v8 dst_sel:DWORD dst_unused:UNUSED_PAD src0_sel:DWORD src1_sel:BYTE_0
	ds_read2_b64 v[0:3], v64 offset0:156 offset1:195
	global_load_dwordx4 v[22:25], v9, s[8:9] offset:16
	global_load_dwordx4 v[86:89], v9, s[8:9]
	s_mov_b64 s[16:17], 0x4e
	v_lshl_add_u64 v[132:133], v[154:155], 0, s[16:17]
	v_mul_lo_u16_sdwa v13, v132, s3 dst_sel:DWORD dst_unused:UNUSED_PAD src0_sel:BYTE_0 src1_sel:DWORD
	v_lshrrev_b16_e32 v13, 10, v13
	v_mul_lo_u16_e32 v16, 13, v13
	v_sub_u16_e32 v16, v132, v16
	v_add_u32_e32 v9, 0x800, v64
	v_lshlrev_b32_sdwa v17, v4, v16 dst_sel:DWORD dst_unused:UNUSED_PAD src0_sel:DWORD src1_sel:BYTE_0
	v_add_u32_e32 v10, 0x1000, v64
	ds_read_b64 v[44:45], v64 offset:7488
	ds_read2_b64 v[68:71], v9 offset0:56 offset1:95
	ds_read2_b64 v[72:75], v10 offset0:34 offset1:73
	;; [unrolled: 1-line block ×3, first 2 shown]
	global_load_dwordx4 v[36:39], v17, s[8:9] offset:16
	global_load_dwordx4 v[40:43], v17, s[8:9]
	v_mul_lo_u16_sdwa v11, v154, s3 dst_sel:DWORD dst_unused:UNUSED_PAD src0_sel:BYTE_0 src1_sel:DWORD
	v_mul_lo_u16_sdwa v12, v116, s3 dst_sel:DWORD dst_unused:UNUSED_PAD src0_sel:BYTE_0 src1_sel:DWORD
	v_lshrrev_b16_e32 v11, 10, v11
	v_lshrrev_b16_e32 v12, 10, v12
	v_mul_lo_u16_e32 v14, 13, v11
	v_mul_lo_u16_e32 v15, 13, v12
	v_sub_u16_e32 v14, v154, v14
	v_sub_u16_e32 v15, v116, v15
	v_lshlrev_b32_sdwa v17, v4, v14 dst_sel:DWORD dst_unused:UNUSED_PAD src0_sel:DWORD src1_sel:BYTE_0
	v_lshlrev_b32_sdwa v4, v4, v15 dst_sel:DWORD dst_unused:UNUSED_PAD src0_sel:DWORD src1_sel:BYTE_0
	global_load_dwordx4 v[18:21], v17, s[8:9] offset:16
	global_load_dwordx4 v[26:29], v17, s[8:9]
	global_load_dwordx4 v[110:113], v4, s[8:9] offset:16
	global_load_dwordx4 v[118:121], v4, s[8:9]
	s_mov_b32 s0, 0x3f737871
	s_mov_b32 s14, 0x3f167918
	v_mul_u32_u24_e32 v11, 0x41, v11
	v_mul_u32_u24_e32 v4, 0x41, v13
	s_mov_b32 s2, 0x3e9e377a
	v_add_u32_sdwa v11, v11, v14 dst_sel:DWORD dst_unused:UNUSED_PAD src0_sel:DWORD src1_sel:BYTE_0
	v_add_u32_sdwa v4, v4, v16 dst_sel:DWORD dst_unused:UNUSED_PAD src0_sel:DWORD src1_sel:BYTE_0
	v_lshl_add_u32 v14, v11, 3, v240
	v_lshl_add_u32 v11, v4, 3, v240
	v_mul_u32_u24_e32 v4, 0x41, v7
	v_add_u32_sdwa v4, v4, v8 dst_sel:DWORD dst_unused:UNUSED_PAD src0_sel:DWORD src1_sel:BYTE_0
	v_lshl_add_u32 v7, v4, 3, v240
	v_add_u32_e32 v4, 0x1800, v64
	v_add_u32_e32 v138, 0x400, v64
	v_mul_u32_u24_e32 v12, 0x41, v12
	v_add_u32_sdwa v12, v12, v15 dst_sel:DWORD dst_unused:UNUSED_PAD src0_sel:DWORD src1_sel:BYTE_0
	v_lshl_add_u32 v12, v12, 3, v240
	v_accvgpr_write_b32 a33, v14
	v_accvgpr_write_b32 a32, v12
	;; [unrolled: 1-line block ×4, first 2 shown]
	s_waitcnt vmcnt(9) lgkmcnt(2)
	v_pk_mul_f32 v[46:47], v[70:71], v[32:33] op_sel:[0,1]
	v_mov_b32_e32 v50, v35
	s_waitcnt vmcnt(8) lgkmcnt(0)
	v_pk_mul_f32 v[52:53], v[78:79], v[80:81] op_sel:[0,1]
	v_mov_b32_e32 v54, v83
	v_pk_fma_f32 v[56:57], v[70:71], v[32:33], v[46:47] op_sel:[0,0,1] op_sel_hi:[1,0,0]
	v_pk_fma_f32 v[48:49], v[70:71], v[32:33], v[46:47] op_sel:[0,0,1] op_sel_hi:[1,0,0] neg_lo:[0,0,1] neg_hi:[0,0,1]
	v_pk_mul_f32 v[46:47], v[72:73], v[50:51] op_sel_hi:[1,0]
	v_pk_fma_f32 v[58:59], v[78:79], v[80:81], v[52:53] op_sel:[0,0,1] op_sel_hi:[1,0,0]
	v_pk_fma_f32 v[50:51], v[78:79], v[80:81], v[52:53] op_sel:[0,0,1] op_sel_hi:[1,0,0] neg_lo:[0,0,1] neg_hi:[0,0,1]
	v_pk_mul_f32 v[54:55], v[44:45], v[54:55] op_sel_hi:[1,0]
	v_pk_fma_f32 v[60:61], v[72:73], v[34:35], v[46:47] op_sel:[0,0,1] op_sel_hi:[1,0,0]
	v_pk_fma_f32 v[52:53], v[72:73], v[34:35], v[46:47] op_sel:[0,0,1] op_sel_hi:[1,0,0] neg_lo:[0,0,1] neg_hi:[0,0,1]
	v_mov_b32_e32 v49, v57
	v_mov_b32_e32 v51, v59
	v_pk_fma_f32 v[46:47], v[44:45], v[82:83], v[54:55] op_sel:[0,0,1] op_sel_hi:[1,0,0]
	v_pk_fma_f32 v[56:57], v[44:45], v[82:83], v[54:55] op_sel:[0,0,1] op_sel_hi:[1,0,0] neg_lo:[0,0,1] neg_hi:[0,0,1]
	v_mov_b32_e32 v53, v61
	v_mov_b32_e32 v57, v47
	v_pk_add_f32 v[44:45], v[52:53], v[50:51]
	v_pk_add_f32 v[54:55], v[48:49], v[56:57] neg_lo:[0,1] neg_hi:[0,1]
	v_pk_add_f32 v[46:47], v[48:49], v[52:53] neg_lo:[0,1] neg_hi:[0,1]
	;; [unrolled: 1-line block ×3, first 2 shown]
	v_pk_fma_f32 v[44:45], v[44:45], 0.5, v[0:1] op_sel_hi:[1,0,1] neg_lo:[1,0,0] neg_hi:[1,0,0]
	v_pk_add_f32 v[58:59], v[52:53], v[50:51] neg_lo:[0,1] neg_hi:[0,1]
	v_pk_add_f32 v[60:61], v[46:47], v[60:61]
	v_pk_fma_f32 v[46:47], v[54:55], s[0:1], v[44:45] op_sel:[1,0,0] op_sel_hi:[0,0,1]
	v_pk_fma_f32 v[44:45], v[54:55], s[0:1], v[44:45] op_sel:[1,0,0] op_sel_hi:[0,0,1] neg_lo:[1,0,0] neg_hi:[1,0,0]
	v_pk_fma_f32 v[62:63], v[58:59], s[14:15], v[46:47] op_sel:[1,0,0] op_sel_hi:[0,0,1]
	v_pk_fma_f32 v[72:73], v[58:59], s[14:15], v[44:45] op_sel:[1,0,0] op_sel_hi:[0,0,1] neg_lo:[1,0,0] neg_hi:[1,0,0]
	v_accvgpr_write_b32 a58, v80
	v_mov_b32_e32 v44, v72
	v_mov_b32_e32 v45, v63
	v_accvgpr_write_b32 a59, v81
	v_accvgpr_write_b32 a60, v82
	;; [unrolled: 1-line block ×3, first 2 shown]
	v_pk_fma_f32 v[134:135], v[60:61], s[2:3], v[44:45] op_sel_hi:[1,0,1]
	ds_read2_b64 v[44:47], v64 offset0:78 offset1:117
	ds_read2_b64 v[78:81], v9 offset0:212 offset1:251
	s_waitcnt vmcnt(6)
	v_pk_mul_f32 v[70:71], v[68:69], v[86:87] op_sel:[0,1]
	ds_read2_b64 v[82:85], v4 offset0:90 offset1:129
	v_pk_fma_f32 v[66:67], v[68:69], v[86:87], v[70:71] op_sel:[0,0,1] op_sel_hi:[1,1,0] neg_lo:[0,0,1] neg_hi:[0,0,1]
	v_pk_fma_f32 v[68:69], v[68:69], v[86:87], v[70:71] op_sel:[0,0,1] op_sel_hi:[1,0,0]
	v_mov_b32_e32 v72, v25
	v_mov_b32_e32 v68, v89
	s_waitcnt lgkmcnt(1)
	v_pk_mul_f32 v[70:71], v[80:81], v[68:69] op_sel_hi:[1,0]
	v_mov_b32_e32 v67, v69
	v_pk_fma_f32 v[68:69], v[80:81], v[88:89], v[70:71] op_sel:[0,0,1] op_sel_hi:[1,1,0] neg_lo:[0,0,1] neg_hi:[0,0,1]
	v_pk_fma_f32 v[70:71], v[80:81], v[88:89], v[70:71] op_sel:[0,0,1] op_sel_hi:[1,0,0]
	v_pk_mul_f32 v[80:81], v[76:77], v[22:23] op_sel:[0,1]
	v_mov_b32_e32 v69, v71
	v_pk_fma_f32 v[70:71], v[76:77], v[22:23], v[80:81] op_sel:[0,0,1] op_sel_hi:[1,1,0] neg_lo:[0,0,1] neg_hi:[0,0,1]
	v_pk_fma_f32 v[76:77], v[76:77], v[22:23], v[80:81] op_sel:[0,0,1] op_sel_hi:[1,0,0]
	v_accvgpr_write_b32 a50, v86
	v_mov_b32_e32 v71, v77
	s_waitcnt lgkmcnt(0)
	v_pk_mul_f32 v[76:77], v[84:85], v[72:73] op_sel_hi:[1,0]
	v_accvgpr_write_b32 a51, v87
	v_accvgpr_write_b32 a52, v88
	;; [unrolled: 1-line block ×3, first 2 shown]
	v_pk_fma_f32 v[94:95], v[84:85], v[24:25], v[76:77] op_sel:[0,0,1] op_sel_hi:[1,1,0] neg_lo:[0,0,1] neg_hi:[0,0,1]
	v_pk_fma_f32 v[76:77], v[84:85], v[24:25], v[76:77] op_sel:[0,0,1] op_sel_hi:[1,0,0]
	ds_read2_b64 v[84:87], v138 offset0:106 offset1:145
	v_mov_b32_e32 v95, v77
	v_pk_add_f32 v[76:77], v[46:47], v[66:67]
	ds_read2_b64 v[88:91], v10 offset0:112 offset1:151
	v_pk_add_f32 v[76:77], v[76:77], v[68:69]
	s_waitcnt vmcnt(4)
	v_mov_b32_e32 v72, v43
	v_pk_add_f32 v[76:77], v[76:77], v[70:71]
	s_waitcnt vmcnt(0) lgkmcnt(1)
	v_pk_mul_f32 v[106:107], v[84:85], v[118:119] op_sel:[0,1]
	v_pk_add_f32 v[96:97], v[76:77], v[94:95]
	v_pk_mul_f32 v[76:77], v[86:87], v[40:41] op_sel:[0,1]
	v_pk_fma_f32 v[108:109], v[84:85], v[118:119], v[106:107] op_sel:[0,0,1] op_sel_hi:[1,1,0] neg_lo:[0,0,1] neg_hi:[0,0,1]
	v_pk_fma_f32 v[98:99], v[86:87], v[40:41], v[76:77] op_sel:[0,0,1] op_sel_hi:[1,1,0] neg_lo:[0,0,1] neg_hi:[0,0,1]
	v_pk_fma_f32 v[76:77], v[86:87], v[40:41], v[76:77] op_sel:[0,0,1] op_sel_hi:[1,0,0]
	v_pk_fma_f32 v[84:85], v[84:85], v[118:119], v[106:107] op_sel:[0,0,1] op_sel_hi:[1,0,0]
	v_mov_b32_e32 v99, v77
	v_pk_mul_f32 v[76:77], v[78:79], v[72:73] op_sel_hi:[1,0]
	v_mov_b32_e32 v72, v39
	v_pk_fma_f32 v[86:87], v[78:79], v[42:43], v[76:77] op_sel:[0,0,1] op_sel_hi:[1,1,0] neg_lo:[0,0,1] neg_hi:[0,0,1]
	v_pk_fma_f32 v[76:77], v[78:79], v[42:43], v[76:77] op_sel:[0,0,1] op_sel_hi:[1,0,0]
	v_mov_b32_e32 v109, v85
	v_mov_b32_e32 v87, v77
	s_waitcnt lgkmcnt(0)
	v_pk_mul_f32 v[76:77], v[90:91], v[36:37] op_sel:[0,1]
	v_accvgpr_write_b32 a54, v110
	v_pk_fma_f32 v[100:101], v[90:91], v[36:37], v[76:77] op_sel:[0,0,1] op_sel_hi:[1,1,0] neg_lo:[0,0,1] neg_hi:[0,0,1]
	v_pk_fma_f32 v[76:77], v[90:91], v[36:37], v[76:77] op_sel:[0,0,1] op_sel_hi:[1,0,0]
	v_accvgpr_write_b32 a55, v111
	v_mov_b32_e32 v101, v77
	v_pk_mul_f32 v[76:77], v[82:83], v[72:73] op_sel_hi:[1,0]
	v_mov_b32_e32 v72, v121
	v_pk_fma_f32 v[102:103], v[82:83], v[38:39], v[76:77] op_sel:[0,0,1] op_sel_hi:[1,1,0] neg_lo:[0,0,1] neg_hi:[0,0,1]
	v_pk_fma_f32 v[76:77], v[82:83], v[38:39], v[76:77] op_sel:[0,0,1] op_sel_hi:[1,0,0]
	v_accvgpr_write_b32 a56, v112
	v_mov_b32_e32 v103, v77
	v_pk_add_f32 v[76:77], v[44:45], v[98:99]
	v_accvgpr_write_b32 a57, v113
	v_pk_add_f32 v[76:77], v[76:77], v[86:87]
	v_accvgpr_write_b32 a62, v118
	;; [unrolled: 2-line block ×3, first 2 shown]
	v_pk_add_f32 v[104:105], v[76:77], v[102:103]
	ds_read2_b64 v[76:79], v64 offset1:39
	ds_read2_b64 v[80:83], v9 offset0:134 offset1:173
	ds_read2_b64 v[90:93], v4 offset0:12 offset1:51
	v_accvgpr_write_b32 a64, v120
	v_accvgpr_write_b32 a65, v121
	s_waitcnt lgkmcnt(0)
	v_pk_mul_f32 v[84:85], v[82:83], v[72:73] op_sel_hi:[1,0]
	v_mov_b32_e32 v72, v113
	v_pk_fma_f32 v[106:107], v[82:83], v[120:121], v[84:85] op_sel:[0,0,1] op_sel_hi:[1,1,0] neg_lo:[0,0,1] neg_hi:[0,0,1]
	v_pk_fma_f32 v[82:83], v[82:83], v[120:121], v[84:85] op_sel:[0,0,1] op_sel_hi:[1,0,0]
	s_barrier
	v_mov_b32_e32 v107, v83
	v_pk_mul_f32 v[82:83], v[88:89], v[110:111] op_sel:[0,1]
	s_nop 0
	v_pk_fma_f32 v[84:85], v[88:89], v[110:111], v[82:83] op_sel:[0,0,1] op_sel_hi:[1,1,0] neg_lo:[0,0,1] neg_hi:[0,0,1]
	v_pk_fma_f32 v[82:83], v[88:89], v[110:111], v[82:83] op_sel:[0,0,1] op_sel_hi:[1,0,0]
	v_mov_b32_e32 v63, v73
	v_mov_b32_e32 v85, v83
	v_pk_mul_f32 v[82:83], v[92:93], v[72:73] op_sel_hi:[1,0]
	v_accvgpr_write_b32 a45, v25
	v_pk_fma_f32 v[88:89], v[92:93], v[112:113], v[82:83] op_sel:[0,0,1] op_sel_hi:[1,1,0] neg_lo:[0,0,1] neg_hi:[0,0,1]
	v_pk_fma_f32 v[82:83], v[92:93], v[112:113], v[82:83] op_sel:[0,0,1] op_sel_hi:[1,0,0]
	v_pk_mul_f32 v[92:93], v[2:3], v[26:27] op_sel:[0,1]
	v_mov_b32_e32 v89, v83
	v_pk_fma_f32 v[110:111], v[2:3], v[26:27], v[92:93] op_sel:[0,0,1] op_sel_hi:[1,1,0] neg_lo:[0,0,1] neg_hi:[0,0,1]
	v_pk_fma_f32 v[2:3], v[2:3], v[26:27], v[92:93] op_sel:[0,0,1] op_sel_hi:[1,0,0]
	v_pk_add_f32 v[82:83], v[78:79], v[108:109]
	v_mov_b32_e32 v2, v29
	v_mov_b32_e32 v111, v3
	v_pk_mul_f32 v[2:3], v[80:81], v[2:3] op_sel_hi:[1,0]
	v_pk_add_f32 v[82:83], v[82:83], v[106:107]
	v_pk_fma_f32 v[92:93], v[80:81], v[28:29], v[2:3] op_sel:[0,0,1] op_sel_hi:[1,1,0] neg_lo:[0,0,1] neg_hi:[0,0,1]
	v_pk_fma_f32 v[2:3], v[80:81], v[28:29], v[2:3] op_sel:[0,0,1] op_sel_hi:[1,0,0]
	v_pk_add_f32 v[82:83], v[82:83], v[84:85]
	v_mov_b32_e32 v93, v3
	v_pk_mul_f32 v[2:3], v[74:75], v[18:19] op_sel:[0,1]
	v_pk_add_f32 v[122:123], v[110:111], v[92:93] neg_lo:[0,1] neg_hi:[0,1]
	v_pk_fma_f32 v[80:81], v[74:75], v[18:19], v[2:3] op_sel:[0,0,1] op_sel_hi:[1,1,0] neg_lo:[0,0,1] neg_hi:[0,0,1]
	v_pk_fma_f32 v[2:3], v[74:75], v[18:19], v[2:3] op_sel:[0,0,1] op_sel_hi:[1,0,0]
	v_pk_add_f32 v[82:83], v[82:83], v[88:89]
	v_mov_b32_e32 v2, v21
	v_mov_b32_e32 v81, v3
	v_pk_mul_f32 v[2:3], v[90:91], v[2:3] op_sel_hi:[1,0]
	v_pk_add_f32 v[118:119], v[92:93], v[80:81] neg_lo:[0,1] neg_hi:[0,1]
	v_pk_fma_f32 v[74:75], v[90:91], v[20:21], v[2:3] op_sel:[0,0,1] op_sel_hi:[1,1,0] neg_lo:[0,0,1] neg_hi:[0,0,1]
	v_pk_fma_f32 v[2:3], v[90:91], v[20:21], v[2:3] op_sel:[0,0,1] op_sel_hi:[1,0,0]
	v_pk_add_f32 v[90:91], v[92:93], v[80:81]
	v_mov_b32_e32 v75, v3
	v_pk_add_f32 v[112:113], v[110:111], v[74:75] neg_lo:[0,1] neg_hi:[0,1]
	v_pk_fma_f32 v[90:91], v[90:91], 0.5, v[76:77] op_sel_hi:[1,0,1] neg_lo:[1,0,0] neg_hi:[1,0,0]
	v_pk_mul_f32 v[114:115], v[112:113], s[0:1] op_sel_hi:[1,0]
	v_pk_add_f32 v[124:125], v[74:75], v[80:81] neg_lo:[0,1] neg_hi:[0,1]
	v_pk_add_f32 v[2:3], v[76:77], v[110:111]
	v_pk_mul_f32 v[120:121], v[118:119], s[14:15] op_sel_hi:[1,0]
	v_pk_add_f32 v[122:123], v[122:123], v[124:125]
	v_pk_add_f32 v[124:125], v[90:91], v[114:115] op_sel:[0,1] op_sel_hi:[1,0]
	v_pk_add_f32 v[90:91], v[90:91], v[114:115] op_sel:[0,1] op_sel_hi:[1,0] neg_lo:[0,1] neg_hi:[0,1]
	v_pk_add_f32 v[2:3], v[2:3], v[92:93]
	v_pk_add_f32 v[90:91], v[90:91], v[120:121] op_sel:[0,1] op_sel_hi:[1,0] neg_lo:[0,1] neg_hi:[0,1]
	v_pk_add_f32 v[114:115], v[124:125], v[120:121] op_sel:[0,1] op_sel_hi:[1,0]
	v_pk_add_f32 v[2:3], v[2:3], v[80:81]
	v_mov_b32_e32 v120, v114
	v_mov_b32_e32 v121, v91
	v_pk_add_f32 v[2:3], v[2:3], v[74:75]
	v_pk_fma_f32 v[120:121], v[122:123], s[2:3], v[120:121] op_sel_hi:[1,0,1]
	ds_write2_b64 v14, v[2:3], v[120:121] offset1:13
	v_pk_add_f32 v[2:3], v[110:111], v[74:75]
	v_pk_add_f32 v[74:75], v[80:81], v[74:75] neg_lo:[0,1] neg_hi:[0,1]
	v_pk_fma_f32 v[2:3], v[2:3], 0.5, v[76:77] op_sel_hi:[1,0,1] neg_lo:[1,0,0] neg_hi:[1,0,0]
	v_pk_add_f32 v[76:77], v[92:93], v[110:111] neg_lo:[0,1] neg_hi:[0,1]
	v_pk_mul_f32 v[80:81], v[112:113], s[14:15] op_sel_hi:[1,0]
	v_pk_add_f32 v[74:75], v[76:77], v[74:75]
	v_pk_mul_f32 v[76:77], v[118:119], s[0:1] op_sel_hi:[1,0]
	v_mov_b32_e32 v91, v115
	v_pk_add_f32 v[92:93], v[2:3], v[76:77] op_sel:[0,1] op_sel_hi:[1,0] neg_lo:[0,1] neg_hi:[0,1]
	v_pk_add_f32 v[2:3], v[2:3], v[76:77] op_sel:[0,1] op_sel_hi:[1,0]
	v_pk_add_f32 v[76:77], v[92:93], v[80:81] op_sel:[0,1] op_sel_hi:[1,0]
	v_pk_add_f32 v[2:3], v[2:3], v[80:81] op_sel:[0,1] op_sel_hi:[1,0] neg_lo:[0,1] neg_hi:[0,1]
	v_mov_b32_e32 v80, v76
	v_mov_b32_e32 v81, v3
	;; [unrolled: 1-line block ×3, first 2 shown]
	v_pk_fma_f32 v[80:81], v[74:75], s[2:3], v[80:81] op_sel_hi:[1,0,1]
	v_pk_fma_f32 v[2:3], v[74:75], s[2:3], v[2:3] op_sel_hi:[1,0,1]
	ds_write2_b64 v14, v[80:81], v[2:3] offset0:26 offset1:39
	v_pk_fma_f32 v[2:3], v[122:123], s[2:3], v[90:91] op_sel_hi:[1,0,1]
	ds_write_b64 v14, v[2:3] offset:416
	v_pk_add_f32 v[2:3], v[106:107], v[84:85]
	v_pk_add_f32 v[74:75], v[108:109], v[88:89] neg_lo:[0,1] neg_hi:[0,1]
	v_pk_fma_f32 v[2:3], v[2:3], 0.5, v[78:79] op_sel_hi:[1,0,1] neg_lo:[1,0,0] neg_hi:[1,0,0]
	v_pk_mul_f32 v[76:77], v[74:75], s[0:1] op_sel_hi:[1,0]
	v_pk_add_f32 v[80:81], v[106:107], v[84:85] neg_lo:[0,1] neg_hi:[0,1]
	v_pk_add_f32 v[92:93], v[108:109], v[106:107] neg_lo:[0,1] neg_hi:[0,1]
	;; [unrolled: 1-line block ×3, first 2 shown]
	v_pk_mul_f32 v[90:91], v[80:81], s[14:15] op_sel_hi:[1,0]
	v_pk_add_f32 v[92:93], v[92:93], v[110:111]
	v_pk_add_f32 v[110:111], v[2:3], v[76:77] op_sel:[0,1] op_sel_hi:[1,0]
	v_pk_add_f32 v[2:3], v[2:3], v[76:77] op_sel:[0,1] op_sel_hi:[1,0] neg_lo:[0,1] neg_hi:[0,1]
	v_pk_add_f32 v[76:77], v[110:111], v[90:91] op_sel:[0,1] op_sel_hi:[1,0]
	v_pk_add_f32 v[2:3], v[2:3], v[90:91] op_sel:[0,1] op_sel_hi:[1,0] neg_lo:[0,1] neg_hi:[0,1]
	v_mov_b32_e32 v90, v76
	v_mov_b32_e32 v91, v3
	v_pk_fma_f32 v[90:91], v[92:93], s[2:3], v[90:91] op_sel_hi:[1,0,1]
	ds_write2_b64 v12, v[82:83], v[90:91] offset1:13
	v_pk_add_f32 v[82:83], v[108:109], v[88:89]
	v_pk_add_f32 v[84:85], v[84:85], v[88:89] neg_lo:[0,1] neg_hi:[0,1]
	v_pk_fma_f32 v[78:79], v[82:83], 0.5, v[78:79] op_sel_hi:[1,0,1] neg_lo:[1,0,0] neg_hi:[1,0,0]
	v_pk_add_f32 v[82:83], v[106:107], v[108:109] neg_lo:[0,1] neg_hi:[0,1]
	v_pk_mul_f32 v[80:81], v[80:81], s[0:1] op_sel_hi:[1,0]
	v_pk_add_f32 v[82:83], v[82:83], v[84:85]
	v_pk_mul_f32 v[74:75], v[74:75], s[14:15] op_sel_hi:[1,0]
	v_pk_add_f32 v[84:85], v[78:79], v[80:81] op_sel:[0,1] op_sel_hi:[1,0] neg_lo:[0,1] neg_hi:[0,1]
	v_pk_add_f32 v[78:79], v[78:79], v[80:81] op_sel:[0,1] op_sel_hi:[1,0]
	v_mov_b32_e32 v3, v77
	v_pk_add_f32 v[78:79], v[78:79], v[74:75] op_sel:[0,1] op_sel_hi:[1,0] neg_lo:[0,1] neg_hi:[0,1]
	v_pk_add_f32 v[74:75], v[84:85], v[74:75] op_sel:[0,1] op_sel_hi:[1,0]
	v_mov_b32_e32 v81, v79
	v_mov_b32_e32 v80, v74
	;; [unrolled: 1-line block ×3, first 2 shown]
	v_pk_fma_f32 v[80:81], v[82:83], s[2:3], v[80:81] op_sel_hi:[1,0,1]
	v_pk_fma_f32 v[74:75], v[82:83], s[2:3], v[78:79] op_sel_hi:[1,0,1]
	;; [unrolled: 1-line block ×3, first 2 shown]
	ds_write2_b64 v12, v[80:81], v[74:75] offset0:26 offset1:39
	ds_write_b64 v12, v[2:3] offset:416
	v_pk_add_f32 v[2:3], v[86:87], v[100:101]
	v_pk_add_f32 v[74:75], v[98:99], v[102:103] neg_lo:[0,1] neg_hi:[0,1]
	v_pk_fma_f32 v[2:3], v[2:3], 0.5, v[44:45] op_sel_hi:[1,0,1] neg_lo:[1,0,0] neg_hi:[1,0,0]
	v_pk_mul_f32 v[76:77], v[74:75], s[0:1] op_sel_hi:[1,0]
	v_pk_add_f32 v[78:79], v[86:87], v[100:101] neg_lo:[0,1] neg_hi:[0,1]
	v_pk_add_f32 v[82:83], v[98:99], v[86:87] neg_lo:[0,1] neg_hi:[0,1]
	;; [unrolled: 1-line block ×3, first 2 shown]
	v_pk_mul_f32 v[80:81], v[78:79], s[14:15] op_sel_hi:[1,0]
	v_pk_add_f32 v[82:83], v[82:83], v[84:85]
	v_pk_add_f32 v[84:85], v[2:3], v[76:77] op_sel:[0,1] op_sel_hi:[1,0]
	v_pk_add_f32 v[2:3], v[2:3], v[76:77] op_sel:[0,1] op_sel_hi:[1,0] neg_lo:[0,1] neg_hi:[0,1]
	v_pk_add_f32 v[76:77], v[84:85], v[80:81] op_sel:[0,1] op_sel_hi:[1,0]
	v_pk_add_f32 v[2:3], v[2:3], v[80:81] op_sel:[0,1] op_sel_hi:[1,0] neg_lo:[0,1] neg_hi:[0,1]
	v_mov_b32_e32 v80, v76
	v_mov_b32_e32 v81, v3
	v_pk_fma_f32 v[80:81], v[82:83], s[2:3], v[80:81] op_sel_hi:[1,0,1]
	ds_write2_b64 v11, v[104:105], v[80:81] offset1:13
	v_pk_add_f32 v[80:81], v[98:99], v[102:103]
	v_pk_add_f32 v[84:85], v[100:101], v[102:103] neg_lo:[0,1] neg_hi:[0,1]
	v_pk_fma_f32 v[44:45], v[80:81], 0.5, v[44:45] op_sel_hi:[1,0,1] neg_lo:[1,0,0] neg_hi:[1,0,0]
	v_pk_add_f32 v[80:81], v[86:87], v[98:99] neg_lo:[0,1] neg_hi:[0,1]
	v_pk_mul_f32 v[78:79], v[78:79], s[0:1] op_sel_hi:[1,0]
	v_pk_add_f32 v[80:81], v[80:81], v[84:85]
	v_pk_mul_f32 v[74:75], v[74:75], s[14:15] op_sel_hi:[1,0]
	v_pk_add_f32 v[84:85], v[44:45], v[78:79] op_sel:[0,1] op_sel_hi:[1,0] neg_lo:[0,1] neg_hi:[0,1]
	v_pk_add_f32 v[44:45], v[44:45], v[78:79] op_sel:[0,1] op_sel_hi:[1,0]
	v_mov_b32_e32 v3, v77
	v_pk_add_f32 v[44:45], v[44:45], v[74:75] op_sel:[0,1] op_sel_hi:[1,0] neg_lo:[0,1] neg_hi:[0,1]
	v_pk_add_f32 v[74:75], v[84:85], v[74:75] op_sel:[0,1] op_sel_hi:[1,0]
	v_mov_b32_e32 v79, v45
	v_mov_b32_e32 v78, v74
	;; [unrolled: 1-line block ×3, first 2 shown]
	v_pk_fma_f32 v[78:79], v[80:81], s[2:3], v[78:79] op_sel_hi:[1,0,1]
	v_pk_fma_f32 v[44:45], v[80:81], s[2:3], v[44:45] op_sel_hi:[1,0,1]
	;; [unrolled: 1-line block ×3, first 2 shown]
	ds_write2_b64 v11, v[78:79], v[44:45] offset0:26 offset1:39
	ds_write_b64 v11, v[2:3] offset:416
	v_pk_add_f32 v[2:3], v[68:69], v[70:71]
	v_pk_add_f32 v[44:45], v[66:67], v[94:95] neg_lo:[0,1] neg_hi:[0,1]
	v_pk_fma_f32 v[2:3], v[2:3], 0.5, v[46:47] op_sel_hi:[1,0,1] neg_lo:[1,0,0] neg_hi:[1,0,0]
	v_pk_mul_f32 v[74:75], v[44:45], s[0:1] op_sel_hi:[1,0]
	v_pk_add_f32 v[76:77], v[68:69], v[70:71] neg_lo:[0,1] neg_hi:[0,1]
	v_pk_add_f32 v[80:81], v[66:67], v[68:69] neg_lo:[0,1] neg_hi:[0,1]
	;; [unrolled: 1-line block ×3, first 2 shown]
	v_pk_mul_f32 v[78:79], v[76:77], s[14:15] op_sel_hi:[1,0]
	v_pk_add_f32 v[80:81], v[80:81], v[82:83]
	v_pk_add_f32 v[82:83], v[2:3], v[74:75] op_sel:[0,1] op_sel_hi:[1,0]
	v_pk_add_f32 v[2:3], v[2:3], v[74:75] op_sel:[0,1] op_sel_hi:[1,0] neg_lo:[0,1] neg_hi:[0,1]
	v_pk_add_f32 v[74:75], v[82:83], v[78:79] op_sel:[0,1] op_sel_hi:[1,0]
	v_pk_add_f32 v[2:3], v[2:3], v[78:79] op_sel:[0,1] op_sel_hi:[1,0] neg_lo:[0,1] neg_hi:[0,1]
	v_mov_b32_e32 v78, v74
	v_mov_b32_e32 v79, v3
	v_pk_fma_f32 v[78:79], v[80:81], s[2:3], v[78:79] op_sel_hi:[1,0,1]
	v_mov_b32_e32 v3, v75
	ds_write2_b64 v7, v[96:97], v[78:79] offset1:13
	v_pk_add_f32 v[78:79], v[66:67], v[94:95]
	v_pk_add_f32 v[66:67], v[68:69], v[66:67] neg_lo:[0,1] neg_hi:[0,1]
	v_pk_add_f32 v[68:69], v[70:71], v[94:95] neg_lo:[0,1] neg_hi:[0,1]
	v_pk_fma_f32 v[2:3], v[80:81], s[2:3], v[2:3] op_sel_hi:[1,0,1]
	v_pk_fma_f32 v[46:47], v[78:79], 0.5, v[46:47] op_sel_hi:[1,0,1] neg_lo:[1,0,0] neg_hi:[1,0,0]
	v_pk_add_f32 v[66:67], v[66:67], v[68:69]
	v_pk_mul_f32 v[68:69], v[76:77], s[0:1] op_sel_hi:[1,0]
	ds_write_b64 v7, v[2:3] offset:416
	v_mul_u32_u24_e32 v2, 0x41, v5
	v_pk_mul_f32 v[44:45], v[44:45], s[14:15] op_sel_hi:[1,0]
	v_pk_add_f32 v[70:71], v[46:47], v[68:69] op_sel:[0,1] op_sel_hi:[1,0] neg_lo:[0,1] neg_hi:[0,1]
	v_pk_add_f32 v[46:47], v[46:47], v[68:69] op_sel:[0,1] op_sel_hi:[1,0]
	v_add_u32_sdwa v2, v2, v6 dst_sel:DWORD dst_unused:UNUSED_PAD src0_sel:DWORD src1_sel:BYTE_0
	v_pk_add_f32 v[46:47], v[46:47], v[44:45] op_sel:[0,1] op_sel_hi:[1,0] neg_lo:[0,1] neg_hi:[0,1]
	v_pk_add_f32 v[44:45], v[70:71], v[44:45] op_sel:[0,1] op_sel_hi:[1,0]
	v_lshl_add_u32 v5, v2, 3, v240
	v_pk_add_f32 v[2:3], v[0:1], v[48:49]
	v_mov_b32_e32 v68, v44
	v_mov_b32_e32 v69, v47
	;; [unrolled: 1-line block ×3, first 2 shown]
	v_pk_add_f32 v[2:3], v[2:3], v[52:53]
	v_pk_fma_f32 v[68:69], v[66:67], s[2:3], v[68:69] op_sel_hi:[1,0,1]
	v_pk_fma_f32 v[44:45], v[66:67], s[2:3], v[46:47] op_sel_hi:[1,0,1]
	v_pk_add_f32 v[2:3], v[2:3], v[50:51]
	ds_write2_b64 v7, v[68:69], v[44:45] offset0:26 offset1:39
	v_pk_add_f32 v[2:3], v[2:3], v[56:57]
	v_pk_fma_f32 v[44:45], v[60:61], s[2:3], v[62:63] op_sel_hi:[1,0,1]
	ds_write2_b64 v5, v[2:3], v[44:45] offset1:13
	v_pk_add_f32 v[2:3], v[48:49], v[56:57]
	v_pk_add_f32 v[44:45], v[50:51], v[56:57] neg_lo:[0,1] neg_hi:[0,1]
	v_pk_fma_f32 v[0:1], v[2:3], 0.5, v[0:1] op_sel_hi:[1,0,1] neg_lo:[1,0,0] neg_hi:[1,0,0]
	v_pk_add_f32 v[2:3], v[52:53], v[48:49] neg_lo:[0,1] neg_hi:[0,1]
	ds_write_b64 v5, v[134:135] offset:416
	v_pk_add_f32 v[2:3], v[2:3], v[44:45]
	v_pk_fma_f32 v[44:45], v[58:59], s[0:1], v[0:1] op_sel:[1,0,0] op_sel_hi:[0,0,1] neg_lo:[1,0,0] neg_hi:[1,0,0]
	v_pk_fma_f32 v[0:1], v[58:59], s[0:1], v[0:1] op_sel:[1,0,0] op_sel_hi:[0,0,1]
	v_pk_fma_f32 v[0:1], v[54:55], s[14:15], v[0:1] op_sel:[1,0,0] op_sel_hi:[0,0,1] neg_lo:[1,0,0] neg_hi:[1,0,0]
	v_pk_fma_f32 v[44:45], v[54:55], s[14:15], v[44:45] op_sel:[1,0,0] op_sel_hi:[0,0,1]
	v_mov_b32_e32 v46, v44
	v_mov_b32_e32 v47, v1
	;; [unrolled: 1-line block ×3, first 2 shown]
	v_pk_fma_f32 v[46:47], v[2:3], s[2:3], v[46:47] op_sel_hi:[1,0,1]
	v_pk_fma_f32 v[0:1], v[2:3], s[2:3], v[0:1] op_sel_hi:[1,0,1]
	ds_write2_b64 v5, v[46:47], v[0:1] offset0:26 offset1:39
	s_waitcnt lgkmcnt(0)
	s_barrier
	ds_read2_b64 v[112:115], v64 offset1:39
	ds_read2_b64 v[122:125], v9 offset0:69 offset1:108
	ds_read2_b64 v[118:121], v10 offset0:138 offset1:177
	;; [unrolled: 1-line block ×6, first 2 shown]
	v_add_u32_e32 v0, 0xc00, v64
	ds_read2_b64 v[96:99], v0 offset0:97 offset1:136
	ds_read2_b64 v[92:95], v4 offset0:38 offset1:77
	;; [unrolled: 1-line block ×5, first 2 shown]
	v_accvgpr_write_b32 a49, v29
	v_accvgpr_write_b32 a41, v21
	;; [unrolled: 1-line block ×12, first 2 shown]
	v_cmp_gt_u16_e64 s[0:1], 13, v154
                                        ; implicit-def: $vgpr2
                                        ; implicit-def: $vgpr0
	s_mov_b64 s[2:3], exec
	s_and_b64 s[14:15], s[2:3], s[0:1]
	v_mov_b32_e32 v28, v240
	s_mov_b64 exec, s[14:15]
	s_cbranch_execz .LBB0_9
; %bb.8:
	ds_read_b64 v[2:3], v64 offset:7696
	ds_read_b64 v[134:135], v64 offset:2496
	;; [unrolled: 1-line block ×3, first 2 shown]
	s_waitcnt lgkmcnt(2)
	v_mov_b32_e32 v0, v3
.LBB0_9:
	s_or_b64 exec, exec, s[2:3]
	s_mov_b64 s[2:3], 0xea
	v_lshl_add_u64 v[44:45], v[154:155], 0, s[2:3]
	v_add_u32_e32 v1, 0x111, v154
	s_movk_i32 s2, 0xfc1
	v_mul_u32_u24_sdwa v6, v1, s2 dst_sel:DWORD dst_unused:UNUSED_PAD src0_sel:WORD_0 src1_sel:DWORD
	v_mul_u32_u24_sdwa v4, v44, s2 dst_sel:DWORD dst_unused:UNUSED_PAD src0_sel:WORD_0 src1_sel:DWORD
	v_lshrrev_b32_e32 v6, 18, v6
	v_add_u32_e32 v3, 0x138, v154
	v_lshrrev_b32_e32 v4, 18, v4
	v_mul_lo_u16_e32 v6, 0x41, v6
	v_lshl_add_u64 v[46:47], v[154:155], 4, s[8:9]
	v_mul_lo_u16_e32 v5, 0x41, v4
	v_sub_u16_e32 v6, v1, v6
	v_mul_u32_u24_sdwa v1, v3, s2 dst_sel:DWORD dst_unused:UNUSED_PAD src0_sel:WORD_0 src1_sel:DWORD
	global_load_dwordx4 v[16:19], v[46:47], off offset:416
	v_sub_u16_e32 v5, v44, v5
	v_lshrrev_b32_e32 v1, 18, v1
	v_lshlrev_b16_e32 v136, 4, v5
	v_mov_b32_e32 v137, 0
	v_mul_lo_u16_e32 v1, 0x41, v1
	v_lshl_add_u64 v[44:45], s[8:9], 0, v[136:137]
	v_lshlrev_b16_e32 v136, 4, v6
	v_sub_u16_e32 v7, v3, v1
	v_lshl_add_u64 v[140:141], s[8:9], 0, v[136:137]
	v_lshlrev_b16_e32 v136, 4, v7
	v_lshl_add_u64 v[48:49], s[8:9], 0, v[136:137]
	global_load_dwordx4 v[12:15], v[48:49], off offset:416
	global_load_dwordx4 v[56:59], v[46:47], off offset:624
	s_movk_i32 s2, 0xffe6
	s_mov_b32 s3, -1
	v_lshl_add_u64 v[48:49], v[154:155], 0, s[2:3]
	v_cmp_gt_u16_e64 s[2:3], 26, v154
	v_mov_b32_e32 v1, 4
	v_add_u16_e32 v3, 0xc3, v154
	v_cndmask_b32_e64 v143, v49, v117, s[2:3]
	v_cndmask_b32_e64 v142, v48, v116, s[2:3]
	v_lshl_add_u64 v[48:49], v[142:143], 4, s[8:9]
	global_load_dwordx4 v[48:51], v[48:49], off offset:416
	s_movk_i32 s2, 0xfd
	v_mul_lo_u16_sdwa v8, v130, s2 dst_sel:DWORD dst_unused:UNUSED_PAD src0_sel:BYTE_0 src1_sel:DWORD
	v_lshrrev_b16_e32 v8, 14, v8
	v_mul_lo_u16_e32 v11, 0x41, v8
	v_sub_u16_e32 v11, v130, v11
	v_lshlrev_b32_sdwa v1, v1, v11 dst_sel:DWORD dst_unused:UNUSED_PAD src0_sel:DWORD src1_sel:BYTE_0
	global_load_dwordx4 v[76:79], v1, s[8:9] offset:416
	v_mul_lo_u16_sdwa v9, v128, s2 dst_sel:DWORD dst_unused:UNUSED_PAD src0_sel:BYTE_0 src1_sel:DWORD
	v_mul_lo_u16_sdwa v10, v3, s2 dst_sel:DWORD dst_unused:UNUSED_PAD src0_sel:BYTE_0 src1_sel:DWORD
	v_lshrrev_b16_e32 v9, 14, v9
	v_lshrrev_b16_e32 v10, 14, v10
	v_mul_lo_u16_e32 v9, 0x41, v9
	v_mul_lo_u16_e32 v10, 0x41, v10
	v_sub_u16_e32 v9, v128, v9
	v_sub_u16_e32 v3, v3, v10
	v_and_b32_e32 v9, 0xff, v9
	v_and_b32_e32 v10, 0xff, v3
	v_lshlrev_b32_e32 v1, 4, v9
	v_lshlrev_b32_e32 v3, 4, v10
	global_load_dwordx4 v[84:87], v1, s[8:9] offset:416
	global_load_dwordx4 v[80:83], v3, s[8:9] offset:416
	global_load_dwordx4 v[68:71], v[44:45], off offset:416
	s_nop 0
	global_load_dwordx4 v[44:47], v[140:141], off offset:416
	s_waitcnt lgkmcnt(0)
	v_mov_b32_e32 v136, v127
	s_movk_i32 s15, 0xc3
	s_mov_b32 s14, 0x3f5db3d7
	s_barrier
	v_cmp_lt_u16_e64 s[2:3], 25, v154
	v_mul_u32_u24_e32 v8, 0xc3, v8
	v_add_u32_sdwa v8, v8, v11 dst_sel:DWORD dst_unused:UNUSED_PAD src0_sel:DWORD src1_sel:BYTE_0
	v_lshl_add_u32 v8, v8, 3, v28
	v_lshl_add_u32 v9, v9, 3, v28
	v_accvgpr_write_b32 a75, v8
	v_accvgpr_write_b32 a76, v9
	v_mad_legacy_u16 v4, v4, s15, v5
	v_lshl_add_u32 v4, v4, 3, v28
	v_lshl_add_u32 v5, v6, 3, v28
	v_accvgpr_write_b32 a79, v4
	v_accvgpr_write_b32 a80, v5
	s_waitcnt vmcnt(8)
	v_pk_mul_f32 v[140:141], v[122:123], v[16:17] op_sel:[0,1]
	v_mov_b32_e32 v146, v19
	v_pk_fma_f32 v[148:149], v[122:123], v[16:17], v[140:141] op_sel:[0,0,1] op_sel_hi:[1,1,0] neg_lo:[0,0,1] neg_hi:[0,0,1]
	v_pk_fma_f32 v[122:123], v[122:123], v[16:17], v[140:141] op_sel:[0,0,1] op_sel_hi:[1,0,0]
	v_pk_mul_f32 v[140:141], v[118:119], v[146:147] op_sel_hi:[1,0]
	v_mov_b32_e32 v149, v123
	v_pk_fma_f32 v[122:123], v[118:119], v[18:19], v[140:141] op_sel:[0,0,1] op_sel_hi:[1,1,0] neg_lo:[0,0,1] neg_hi:[0,0,1]
	v_pk_fma_f32 v[118:119], v[118:119], v[18:19], v[140:141] op_sel:[0,0,1] op_sel_hi:[1,0,0]
	v_accvgpr_write_b32 a73, v19
	v_mov_b32_e32 v123, v119
	v_pk_add_f32 v[118:119], v[148:149], v[122:123]
	v_pk_add_f32 v[140:141], v[148:149], v[122:123] neg_lo:[0,1] neg_hi:[0,1]
	v_pk_fma_f32 v[146:147], v[118:119], 0.5, v[112:113] op_sel_hi:[1,0,1] neg_lo:[1,0,0] neg_hi:[1,0,0]
	s_waitcnt vmcnt(7)
	v_pk_mul_f32 v[118:119], v[136:137], v[12:13] op_sel_hi:[0,1]
	v_pk_mul_f32 v[150:151], v[0:1], v[14:15] op_sel_hi:[0,1]
	v_pk_fma_f32 v[152:153], v[126:127], v[12:13], v[118:119] op_sel:[0,0,1] op_sel_hi:[0,1,0]
	v_pk_fma_f32 v[0:1], v[126:127], v[12:13], v[118:119] op_sel:[0,0,1] op_sel_hi:[0,1,0] neg_lo:[0,0,1] neg_hi:[0,0,1]
	v_pk_fma_f32 v[118:119], v[2:3], v[14:15], v[150:151] op_sel:[0,0,1] op_sel_hi:[0,1,0]
	v_pk_fma_f32 v[2:3], v[2:3], v[14:15], v[150:151] op_sel:[0,0,1] op_sel_hi:[0,1,0] neg_lo:[0,0,1] neg_hi:[0,0,1]
	v_mov_b32_e32 v1, v153
	v_mov_b32_e32 v3, v119
	v_pk_add_f32 v[118:119], v[0:1], v[2:3]
	v_pk_add_f32 v[126:127], v[0:1], v[2:3] neg_lo:[0,1] neg_hi:[0,1]
	v_accvgpr_write_b32 a37, v15
	v_pk_fma_f32 v[118:119], v[118:119], 0.5, v[134:135] op_sel_hi:[1,0,1] neg_lo:[1,0,0] neg_hi:[1,0,0]
	v_pk_mul_f32 v[126:127], v[126:127], s[14:15] op_sel_hi:[1,0]
	v_accvgpr_write_b32 a36, v14
	v_accvgpr_write_b32 a35, v13
	;; [unrolled: 1-line block ×3, first 2 shown]
	v_pk_add_f32 v[150:151], v[118:119], v[126:127] op_sel:[0,1] op_sel_hi:[1,0]
	v_pk_add_f32 v[12:13], v[118:119], v[126:127] op_sel:[0,1] op_sel_hi:[1,0] neg_lo:[0,1] neg_hi:[0,1]
	v_pk_mul_f32 v[126:127], v[140:141], s[14:15] op_sel_hi:[1,0]
	v_pk_add_f32 v[112:113], v[112:113], v[148:149]
	v_pk_add_f32 v[140:141], v[146:147], v[126:127] op_sel:[0,1] op_sel_hi:[1,0] neg_lo:[0,1] neg_hi:[0,1]
	v_pk_add_f32 v[126:127], v[146:147], v[126:127] op_sel:[0,1] op_sel_hi:[1,0]
	v_pk_add_f32 v[112:113], v[112:113], v[122:123]
	v_mov_b32_e32 v122, v126
	v_mov_b32_e32 v123, v141
	ds_write2_b64 v64, v[112:113], v[122:123] offset1:65
	s_waitcnt vmcnt(5)
	v_pk_mul_f32 v[112:113], v[124:125], v[48:49] op_sel:[0,1]
	v_mov_b32_e32 v119, v13
	v_pk_fma_f32 v[122:123], v[124:125], v[48:49], v[112:113] op_sel:[0,0,1] op_sel_hi:[1,1,0] neg_lo:[0,0,1] neg_hi:[0,0,1]
	v_pk_fma_f32 v[112:113], v[124:125], v[48:49], v[112:113] op_sel:[0,0,1] op_sel_hi:[1,0,0]
	v_mov_b32_e32 v13, v151
	v_mov_b32_e32 v112, v51
	;; [unrolled: 1-line block ×3, first 2 shown]
	v_pk_mul_f32 v[112:113], v[120:121], v[112:113] op_sel_hi:[1,0]
	v_accvgpr_write_b32 a67, v13
	v_pk_fma_f32 v[124:125], v[120:121], v[50:51], v[112:113] op_sel:[0,0,1] op_sel_hi:[1,1,0] neg_lo:[0,0,1] neg_hi:[0,0,1]
	v_pk_fma_f32 v[112:113], v[120:121], v[50:51], v[112:113] op_sel:[0,0,1] op_sel_hi:[1,0,0]
	v_accvgpr_write_b32 a66, v12
	v_mov_b32_e32 v125, v113
	v_pk_add_f32 v[120:121], v[122:123], v[124:125]
	v_mov_b32_e32 v12, 0xc3
	v_pk_add_f32 v[112:113], v[114:115], v[122:123]
	v_pk_fma_f32 v[114:115], v[120:121], 0.5, v[114:115] op_sel_hi:[1,0,1] neg_lo:[1,0,0] neg_hi:[1,0,0]
	v_pk_add_f32 v[120:121], v[122:123], v[124:125] neg_lo:[0,1] neg_hi:[0,1]
	v_cndmask_b32_e64 v12, 0, v12, s[2:3]
	v_pk_mul_f32 v[120:121], v[120:121], s[14:15] op_sel_hi:[1,0]
	v_add_u32_e32 v12, v142, v12
	v_pk_add_f32 v[122:123], v[114:115], v[120:121] op_sel:[0,1] op_sel_hi:[1,0]
	v_pk_add_f32 v[114:115], v[114:115], v[120:121] op_sel:[0,1] op_sel_hi:[1,0] neg_lo:[0,1] neg_hi:[0,1]
	v_mov_b32_e32 v141, v127
	v_lshl_add_u32 v12, v12, 3, v28
	v_pk_add_f32 v[112:113], v[112:113], v[124:125]
	v_mov_b32_e32 v120, v122
	v_mov_b32_e32 v121, v115
	ds_write_b64 v64, v[140:141] offset:1040
	ds_write2_b64 v12, v[112:113], v[120:121] offset1:65
	v_mov_b32_e32 v115, v123
	v_pk_mul_f32 v[112:113], v[108:109], v[56:57] op_sel:[0,1]
	ds_write_b64 v12, v[114:115] offset:1040
	v_pk_fma_f32 v[114:115], v[108:109], v[56:57], v[112:113] op_sel:[0,0,1] op_sel_hi:[1,1,0] neg_lo:[0,0,1] neg_hi:[0,0,1]
	v_pk_fma_f32 v[108:109], v[108:109], v[56:57], v[112:113] op_sel:[0,0,1] op_sel_hi:[1,0,0]
	v_accvgpr_write_b32 a72, v18
	v_mov_b32_e32 v108, v59
	v_mov_b32_e32 v115, v109
	v_pk_mul_f32 v[108:109], v[104:105], v[108:109] op_sel_hi:[1,0]
	v_accvgpr_write_b32 a71, v17
	v_pk_fma_f32 v[112:113], v[104:105], v[58:59], v[108:109] op_sel:[0,0,1] op_sel_hi:[1,1,0] neg_lo:[0,0,1] neg_hi:[0,0,1]
	v_pk_fma_f32 v[104:105], v[104:105], v[58:59], v[108:109] op_sel:[0,0,1] op_sel_hi:[1,0,0]
	v_accvgpr_write_b32 a70, v16
	v_mov_b32_e32 v113, v105
	v_pk_add_f32 v[104:105], v[114:115], v[112:113]
	v_pk_add_f32 v[108:109], v[114:115], v[112:113] neg_lo:[0,1] neg_hi:[0,1]
	v_pk_fma_f32 v[104:105], v[104:105], 0.5, v[100:101] op_sel_hi:[1,0,1] neg_lo:[1,0,0] neg_hi:[1,0,0]
	v_pk_mul_f32 v[108:109], v[108:109], s[14:15] op_sel_hi:[1,0]
	v_pk_add_f32 v[100:101], v[100:101], v[114:115]
	v_pk_add_f32 v[120:121], v[104:105], v[108:109] op_sel:[0,1] op_sel_hi:[1,0] neg_lo:[0,1] neg_hi:[0,1]
	v_pk_add_f32 v[104:105], v[104:105], v[108:109] op_sel:[0,1] op_sel_hi:[1,0]
	v_pk_add_f32 v[100:101], v[100:101], v[112:113]
	v_mov_b32_e32 v108, v104
	v_mov_b32_e32 v109, v121
	ds_write2_b64 v138, v[100:101], v[108:109] offset0:80 offset1:145
	s_waitcnt vmcnt(4)
	v_pk_mul_f32 v[100:101], v[110:111], v[76:77] op_sel:[0,1]
	v_mov_b32_e32 v121, v105
	v_pk_fma_f32 v[104:105], v[110:111], v[76:77], v[100:101] op_sel:[0,0,1] op_sel_hi:[1,1,0] neg_lo:[0,0,1] neg_hi:[0,0,1]
	v_pk_fma_f32 v[100:101], v[110:111], v[76:77], v[100:101] op_sel:[0,0,1] op_sel_hi:[1,0,0]
	ds_write_b64 v64, v[120:121] offset:2704
	v_mov_b32_e32 v100, v79
	v_mov_b32_e32 v105, v101
	v_pk_mul_f32 v[100:101], v[106:107], v[100:101] op_sel_hi:[1,0]
	v_mov_b32_e32 v118, v150
	v_pk_fma_f32 v[108:109], v[106:107], v[78:79], v[100:101] op_sel:[0,0,1] op_sel_hi:[1,1,0] neg_lo:[0,0,1] neg_hi:[0,0,1]
	v_pk_fma_f32 v[100:101], v[106:107], v[78:79], v[100:101] op_sel:[0,0,1] op_sel_hi:[1,0,0]
	v_accvgpr_write_b32 a74, v12
	v_mov_b32_e32 v109, v101
	v_pk_add_f32 v[100:101], v[102:103], v[104:105]
	v_pk_add_f32 v[106:107], v[104:105], v[108:109]
	v_pk_add_f32 v[104:105], v[104:105], v[108:109] neg_lo:[0,1] neg_hi:[0,1]
	v_pk_fma_f32 v[102:103], v[106:107], 0.5, v[102:103] op_sel_hi:[1,0,1] neg_lo:[1,0,0] neg_hi:[1,0,0]
	v_pk_mul_f32 v[104:105], v[104:105], s[14:15] op_sel_hi:[1,0]
	v_pk_add_f32 v[100:101], v[100:101], v[108:109]
	v_pk_add_f32 v[106:107], v[102:103], v[104:105] op_sel:[0,1] op_sel_hi:[1,0]
	v_pk_add_f32 v[102:103], v[102:103], v[104:105] op_sel:[0,1] op_sel_hi:[1,0] neg_lo:[0,1] neg_hi:[0,1]
	v_mov_b32_e32 v104, v106
	v_mov_b32_e32 v105, v103
	ds_write2_b64 v8, v[100:101], v[104:105] offset1:65
	v_mov_b32_e32 v103, v107
	s_waitcnt vmcnt(3)
	v_pk_mul_f32 v[100:101], v[96:97], v[84:85] op_sel:[0,1]
	ds_write_b64 v8, v[102:103] offset:1040
	v_pk_fma_f32 v[102:103], v[96:97], v[84:85], v[100:101] op_sel:[0,0,1] op_sel_hi:[1,1,0] neg_lo:[0,0,1] neg_hi:[0,0,1]
	v_pk_fma_f32 v[96:97], v[96:97], v[84:85], v[100:101] op_sel:[0,0,1] op_sel_hi:[1,0,0]
	v_add_u32_e32 v8, 0x800, v9
	v_mov_b32_e32 v96, v87
	v_mov_b32_e32 v103, v97
	v_pk_mul_f32 v[96:97], v[92:93], v[96:97] op_sel_hi:[1,0]
	s_nop 0
	v_pk_fma_f32 v[100:101], v[92:93], v[86:87], v[96:97] op_sel:[0,0,1] op_sel_hi:[1,1,0] neg_lo:[0,0,1] neg_hi:[0,0,1]
	v_pk_fma_f32 v[92:93], v[92:93], v[86:87], v[96:97] op_sel:[0,0,1] op_sel_hi:[1,0,0]
	s_nop 0
	v_mov_b32_e32 v101, v93
	v_pk_add_f32 v[96:97], v[102:103], v[100:101]
	v_pk_add_f32 v[92:93], v[88:89], v[102:103]
	v_pk_fma_f32 v[88:89], v[96:97], 0.5, v[88:89] op_sel_hi:[1,0,1] neg_lo:[1,0,0] neg_hi:[1,0,0]
	v_pk_add_f32 v[96:97], v[102:103], v[100:101] neg_lo:[0,1] neg_hi:[0,1]
	v_pk_add_f32 v[92:93], v[92:93], v[100:101]
	v_pk_mul_f32 v[96:97], v[96:97], s[14:15] op_sel_hi:[1,0]
	s_nop 0
	v_pk_add_f32 v[100:101], v[88:89], v[96:97] op_sel:[0,1] op_sel_hi:[1,0]
	v_pk_add_f32 v[88:89], v[88:89], v[96:97] op_sel:[0,1] op_sel_hi:[1,0] neg_lo:[0,1] neg_hi:[0,1]
	v_mov_b32_e32 v96, v100
	v_mov_b32_e32 v97, v89
	;; [unrolled: 1-line block ×3, first 2 shown]
	ds_write_b64 v9, v[88:89] offset:4160
	s_waitcnt vmcnt(2)
	v_pk_mul_f32 v[88:89], v[98:99], v[80:81] op_sel:[0,1]
	ds_write2_b64 v8, v[92:93], v[96:97] offset0:134 offset1:199
	v_pk_fma_f32 v[92:93], v[98:99], v[80:81], v[88:89] op_sel:[0,0,1] op_sel_hi:[1,1,0] neg_lo:[0,0,1] neg_hi:[0,0,1]
	v_pk_fma_f32 v[88:89], v[98:99], v[80:81], v[88:89] op_sel:[0,0,1] op_sel_hi:[1,0,0]
	v_lshl_add_u32 v9, v10, 3, v28
	v_mov_b32_e32 v88, v83
	v_mov_b32_e32 v93, v89
	v_pk_mul_f32 v[88:89], v[94:95], v[88:89] op_sel_hi:[1,0]
	v_add_u32_e32 v8, 0x1000, v9
	v_pk_fma_f32 v[96:97], v[94:95], v[82:83], v[88:89] op_sel:[0,0,1] op_sel_hi:[1,1,0] neg_lo:[0,0,1] neg_hi:[0,0,1]
	v_pk_fma_f32 v[88:89], v[94:95], v[82:83], v[88:89] op_sel:[0,0,1] op_sel_hi:[1,0,0]
	v_accvgpr_write_b32 a77, v9
	v_mov_b32_e32 v97, v89
	v_pk_add_f32 v[88:89], v[90:91], v[92:93]
	v_pk_add_f32 v[94:95], v[92:93], v[96:97]
	v_pk_add_f32 v[92:93], v[92:93], v[96:97] neg_lo:[0,1] neg_hi:[0,1]
	v_pk_fma_f32 v[90:91], v[94:95], 0.5, v[90:91] op_sel_hi:[1,0,1] neg_lo:[1,0,0] neg_hi:[1,0,0]
	v_pk_mul_f32 v[92:93], v[92:93], s[14:15] op_sel_hi:[1,0]
	v_pk_add_f32 v[88:89], v[88:89], v[96:97]
	v_pk_add_f32 v[94:95], v[90:91], v[92:93] op_sel:[0,1] op_sel_hi:[1,0]
	v_pk_add_f32 v[90:91], v[90:91], v[92:93] op_sel:[0,1] op_sel_hi:[1,0] neg_lo:[0,1] neg_hi:[0,1]
	v_mov_b32_e32 v92, v94
	v_mov_b32_e32 v93, v91
	ds_write2_b64 v8, v[88:89], v[92:93] offset0:73 offset1:138
	v_mov_b32_e32 v91, v95
	s_waitcnt vmcnt(1)
	v_pk_mul_f32 v[88:89], v[72:73], v[68:69] op_sel:[0,1]
	ds_write_b64 v9, v[90:91] offset:5720
	v_pk_fma_f32 v[90:91], v[72:73], v[68:69], v[88:89] op_sel:[0,0,1] op_sel_hi:[1,1,0] neg_lo:[0,0,1] neg_hi:[0,0,1]
	v_pk_fma_f32 v[72:73], v[72:73], v[68:69], v[88:89] op_sel:[0,0,1] op_sel_hi:[1,0,0]
	s_nop 0
	v_mov_b32_e32 v72, v71
	v_mov_b32_e32 v91, v73
	v_pk_mul_f32 v[72:73], v[60:61], v[72:73] op_sel_hi:[1,0]
	s_nop 0
	v_pk_fma_f32 v[88:89], v[60:61], v[70:71], v[72:73] op_sel:[0,0,1] op_sel_hi:[1,1,0] neg_lo:[0,0,1] neg_hi:[0,0,1]
	v_pk_fma_f32 v[60:61], v[60:61], v[70:71], v[72:73] op_sel:[0,0,1] op_sel_hi:[1,0,0]
	s_nop 0
	v_mov_b32_e32 v89, v61
	v_pk_add_f32 v[60:61], v[90:91], v[88:89]
	v_pk_add_f32 v[72:73], v[90:91], v[88:89] neg_lo:[0,1] neg_hi:[0,1]
	v_pk_fma_f32 v[60:61], v[60:61], 0.5, v[52:53] op_sel_hi:[1,0,1] neg_lo:[1,0,0] neg_hi:[1,0,0]
	v_pk_mul_f32 v[72:73], v[72:73], s[14:15] op_sel_hi:[1,0]
	v_pk_add_f32 v[52:53], v[52:53], v[90:91]
	v_pk_add_f32 v[92:93], v[60:61], v[72:73] op_sel:[0,1] op_sel_hi:[1,0] neg_lo:[0,1] neg_hi:[0,1]
	v_pk_add_f32 v[60:61], v[60:61], v[72:73] op_sel:[0,1] op_sel_hi:[1,0]
	v_pk_add_f32 v[52:53], v[52:53], v[88:89]
	v_mov_b32_e32 v72, v60
	v_mov_b32_e32 v73, v93
	ds_write2_b64 v4, v[52:53], v[72:73] offset1:65
	s_waitcnt vmcnt(0)
	v_pk_mul_f32 v[52:53], v[74:75], v[44:45] op_sel:[0,1]
	v_mov_b32_e32 v93, v61
	v_pk_fma_f32 v[60:61], v[74:75], v[44:45], v[52:53] op_sel:[0,0,1] op_sel_hi:[1,1,0] neg_lo:[0,0,1] neg_hi:[0,0,1]
	v_pk_fma_f32 v[52:53], v[74:75], v[44:45], v[52:53] op_sel:[0,0,1] op_sel_hi:[1,0,0]
	ds_write_b64 v4, v[92:93] offset:1040
	v_mov_b32_e32 v52, v47
	v_mov_b32_e32 v61, v53
	v_pk_mul_f32 v[52:53], v[62:63], v[52:53] op_sel_hi:[1,0]
	v_add_u32_e32 v4, 0x1800, v5
	v_pk_fma_f32 v[72:73], v[62:63], v[46:47], v[52:53] op_sel:[0,0,1] op_sel_hi:[1,1,0] neg_lo:[0,0,1] neg_hi:[0,0,1]
	v_pk_fma_f32 v[52:53], v[62:63], v[46:47], v[52:53] op_sel:[0,0,1] op_sel_hi:[1,0,0]
	s_nop 0
	v_mov_b32_e32 v73, v53
	v_pk_add_f32 v[52:53], v[60:61], v[72:73]
	v_pk_add_f32 v[62:63], v[60:61], v[72:73] neg_lo:[0,1] neg_hi:[0,1]
	v_pk_fma_f32 v[52:53], v[52:53], 0.5, v[54:55] op_sel_hi:[1,0,1] neg_lo:[1,0,0] neg_hi:[1,0,0]
	v_pk_mul_f32 v[62:63], v[62:63], s[14:15] op_sel_hi:[1,0]
	v_pk_add_f32 v[54:55], v[54:55], v[60:61]
	v_pk_add_f32 v[74:75], v[52:53], v[62:63] op_sel:[0,1] op_sel_hi:[1,0] neg_lo:[0,1] neg_hi:[0,1]
	v_pk_add_f32 v[52:53], v[52:53], v[62:63] op_sel:[0,1] op_sel_hi:[1,0]
	v_pk_add_f32 v[54:55], v[54:55], v[72:73]
	v_mov_b32_e32 v60, v52
	v_mov_b32_e32 v61, v75
	ds_write2_b64 v4, v[54:55], v[60:61] offset0:12 offset1:77
	v_lshl_add_u32 v4, v7, 3, v28
	v_mov_b32_e32 v75, v53
	v_accvgpr_write_b32 a78, v4
	ds_write_b64 v5, v[74:75] offset:7280
	s_and_saveexec_b64 s[2:3], s[0:1]
	s_cbranch_execz .LBB0_11
; %bb.10:
	v_pk_add_f32 v[0:1], v[134:135], v[0:1]
	s_nop 0
	v_pk_add_f32 v[0:1], v[0:1], v[2:3]
	v_accvgpr_read_b32 v3, a78
	v_add_u32_e32 v2, 0x1800, v3
	ds_write2_b64 v2, v[0:1], v[118:119] offset0:12 offset1:77
	ds_write_b64 v3, a[66:67] offset:7280
.LBB0_11:
	s_or_b64 exec, exec, s[2:3]
	v_lshlrev_b64 v[0:1], 5, v[132:133]
	v_lshl_add_u64 v[0:1], s[8:9], 0, v[0:1]
	s_waitcnt lgkmcnt(0)
	s_barrier
	global_load_dwordx4 v[88:91], v[0:1], off offset:1456
	global_load_dwordx4 v[72:75], v[0:1], off offset:1472
	v_lshlrev_b64 v[0:1], 5, v[130:131]
	v_lshl_add_u64 v[0:1], s[8:9], 0, v[0:1]
	global_load_dwordx4 v[60:63], v[0:1], off offset:1456
	global_load_dwordx4 v[52:55], v[0:1], off offset:1472
	v_lshlrev_b64 v[0:1], 5, v[128:129]
	v_lshlrev_b32_e32 v2, 5, v154
	v_add_u32_e32 v167, 0x400, v64
	v_lshl_add_u64 v[0:1], s[8:9], 0, v[0:1]
	v_lshlrev_b32_e32 v3, 5, v116
	ds_read2_b64 v[140:143], v64 offset0:78 offset1:117
	v_add_u32_e32 v164, 0x800, v64
	v_add_u32_e32 v165, 0x1000, v64
	;; [unrolled: 1-line block ×3, first 2 shown]
	global_load_dwordx4 v[108:111], v2, s[8:9] offset:1472
	global_load_dwordx4 v[112:115], v2, s[8:9] offset:1456
	;; [unrolled: 1-line block ×4, first 2 shown]
	ds_read2_b64 v[168:171], v167 offset0:106 offset1:145
	ds_read2_b64 v[120:123], v164 offset0:212 offset1:251
	;; [unrolled: 1-line block ×5, first 2 shown]
	global_load_dwordx4 v[92:95], v[0:1], off offset:1472
	global_load_dwordx4 v[96:99], v[0:1], off offset:1456
	v_lshlrev_b32_e32 v136, 3, v154
	v_lshl_add_u64 v[146:147], s[12:13], 0, v[136:137]
	s_mov_b32 s16, 0x3f737871
	ds_read2_b64 v[132:135], v165 offset0:190 offset1:229
	s_movk_i32 s15, 0x1000
	s_mov_b32 s14, 0x3f167918
	s_mov_b32 s2, 0x3e9e377a
	v_lshl_add_u32 v4, v145, 3, v144
	v_accvgpr_write_b32 a81, v4
	s_waitcnt vmcnt(9)
	v_mov_b32_e32 v116, v91
	s_waitcnt lgkmcnt(5)
	v_pk_mul_f32 v[2:3], v[170:171], v[88:89] op_sel:[0,1]
	s_waitcnt vmcnt(8) lgkmcnt(3)
	v_pk_mul_f32 v[136:137], v[174:175], v[72:73] op_sel:[0,1]
	v_mov_b32_e32 v138, v75
	s_waitcnt vmcnt(7) lgkmcnt(1)
	v_pk_mul_f32 v[148:149], v[128:129], v[60:61] op_sel:[0,1]
	v_pk_mul_f32 v[116:117], v[120:121], v[116:117] op_sel_hi:[1,0]
	v_mov_b32_e32 v150, v63
	v_pk_fma_f32 v[0:1], v[170:171], v[88:89], v[2:3] op_sel:[0,0,1] op_sel_hi:[1,1,0] neg_lo:[0,0,1] neg_hi:[0,0,1]
	v_pk_fma_f32 v[152:153], v[170:171], v[88:89], v[2:3] op_sel:[0,0,1] op_sel_hi:[1,0,0]
	v_pk_fma_f32 v[2:3], v[174:175], v[72:73], v[136:137] op_sel:[0,0,1] op_sel_hi:[1,1,0] neg_lo:[0,0,1] neg_hi:[0,0,1]
	v_pk_fma_f32 v[136:137], v[174:175], v[72:73], v[136:137] op_sel:[0,0,1] op_sel_hi:[1,0,0]
	v_pk_mul_f32 v[138:139], v[124:125], v[138:139] op_sel_hi:[1,0]
	v_pk_fma_f32 v[170:171], v[128:129], v[60:61], v[148:149] op_sel:[0,0,1] op_sel_hi:[1,1,0] neg_lo:[0,0,1] neg_hi:[0,0,1]
	v_pk_fma_f32 v[128:129], v[128:129], v[60:61], v[148:149] op_sel:[0,0,1] op_sel_hi:[1,0,0]
	v_pk_fma_f32 v[148:149], v[120:121], v[90:91], v[116:117] op_sel:[0,0,1] op_sel_hi:[1,1,0] neg_lo:[0,0,1] neg_hi:[0,0,1]
	v_pk_fma_f32 v[116:117], v[120:121], v[90:91], v[116:117] op_sel:[0,0,1] op_sel_hi:[1,0,0]
	v_pk_mul_f32 v[174:175], v[122:123], v[150:151] op_sel_hi:[1,0]
	v_mov_b32_e32 v3, v137
	v_pk_fma_f32 v[150:151], v[124:125], v[74:75], v[138:139] op_sel:[0,0,1] op_sel_hi:[1,1,0] neg_lo:[0,0,1] neg_hi:[0,0,1]
	v_pk_fma_f32 v[120:121], v[124:125], v[74:75], v[138:139] op_sel:[0,0,1] op_sel_hi:[1,0,0]
	v_mov_b32_e32 v149, v117
	v_mov_b32_e32 v1, v153
	;; [unrolled: 1-line block ×7, first 2 shown]
	v_pk_add_f32 v[120:121], v[148:149], v[2:3]
	v_pk_add_f32 v[136:137], v[0:1], v[148:149] neg_lo:[0,1] neg_hi:[0,1]
	v_pk_add_f32 v[138:139], v[150:151], v[2:3] neg_lo:[0,1] neg_hi:[0,1]
	v_pk_add_f32 v[152:153], v[0:1], v[150:151]
	v_pk_add_f32 v[116:117], v[124:125], v[116:117] neg_lo:[0,1] neg_hi:[0,1]
	v_pk_add_f32 v[124:125], v[148:149], v[0:1] neg_lo:[0,1] neg_hi:[0,1]
	v_pk_add_f32 v[156:157], v[2:3], v[150:151] neg_lo:[0,1] neg_hi:[0,1]
	v_pk_fma_f32 v[120:121], v[120:121], 0.5, v[140:141] op_sel_hi:[1,0,1] neg_lo:[1,0,0] neg_hi:[1,0,0]
	v_mov_b32_e32 v171, v129
	v_pk_add_f32 v[128:129], v[148:149], v[2:3] neg_lo:[0,1] neg_hi:[0,1]
	v_pk_add_f32 v[154:155], v[136:137], v[138:139]
	v_pk_fma_f32 v[136:137], v[152:153], 0.5, v[140:141] op_sel_hi:[1,0,1] neg_lo:[1,0,0] neg_hi:[1,0,0]
	v_pk_add_f32 v[152:153], v[124:125], v[156:157]
	v_pk_fma_f32 v[124:125], v[116:117], s[16:17], v[120:121] op_sel_hi:[1,0,1] neg_lo:[1,0,0] neg_hi:[1,0,0]
	v_pk_fma_f32 v[120:121], v[116:117], s[16:17], v[120:121] op_sel_hi:[1,0,1]
	v_pk_fma_f32 v[138:139], v[128:129], s[16:17], v[136:137] op_sel:[1,0,0] op_sel_hi:[0,0,1]
	v_pk_fma_f32 v[136:137], v[128:129], s[16:17], v[136:137] op_sel:[1,0,0] op_sel_hi:[0,0,1] neg_lo:[1,0,0] neg_hi:[1,0,0]
	v_pk_fma_f32 v[158:159], v[128:129], s[14:15], v[120:121] op_sel:[1,0,0] op_sel_hi:[0,0,1]
	v_pk_fma_f32 v[162:163], v[128:129], s[14:15], v[124:125] op_sel:[1,0,0] op_sel_hi:[0,0,1] neg_lo:[1,0,0] neg_hi:[1,0,0]
	v_pk_fma_f32 v[156:157], v[116:117], s[14:15], v[136:137] op_sel_hi:[1,0,1]
	v_pk_fma_f32 v[160:161], v[116:117], s[14:15], v[138:139] op_sel_hi:[1,0,1] neg_lo:[1,0,0] neg_hi:[1,0,0]
	v_mov_b32_e32 v116, v162
	v_mov_b32_e32 v117, v159
	v_pk_fma_f32 v[120:121], v[154:155], s[2:3], v[116:117] op_sel_hi:[1,0,1]
	v_pk_fma_f32 v[116:117], v[122:123], v[62:63], v[174:175] op_sel:[0,0,1] op_sel_hi:[1,1,0] neg_lo:[0,0,1] neg_hi:[0,0,1]
	v_pk_fma_f32 v[122:123], v[122:123], v[62:63], v[174:175] op_sel:[0,0,1] op_sel_hi:[1,0,0]
	v_mov_b32_e32 v124, v160
	v_mov_b32_e32 v125, v157
	;; [unrolled: 1-line block ×3, first 2 shown]
	s_waitcnt vmcnt(6) lgkmcnt(0)
	v_pk_mul_f32 v[122:123], v[132:133], v[52:53] op_sel:[0,1]
	v_pk_fma_f32 v[30:31], v[152:153], s[2:3], v[124:125] op_sel_hi:[1,0,1]
	v_pk_fma_f32 v[124:125], v[132:133], v[52:53], v[122:123] op_sel:[0,0,1] op_sel_hi:[1,1,0] neg_lo:[0,0,1] neg_hi:[0,0,1]
	v_pk_fma_f32 v[122:123], v[132:133], v[52:53], v[122:123] op_sel:[0,0,1] op_sel_hi:[1,0,0]
	v_pk_add_f32 v[136:137], v[116:117], v[170:171] neg_lo:[0,1] neg_hi:[0,1]
	v_mov_b32_e32 v122, v55
	v_mov_b32_e32 v125, v123
	v_pk_mul_f32 v[122:123], v[126:127], v[122:123] op_sel_hi:[1,0]
	s_waitcnt vmcnt(0)
	v_pk_mul_f32 v[182:183], v[130:131], v[96:97] op_sel:[0,1]
	v_pk_fma_f32 v[128:129], v[126:127], v[54:55], v[122:123] op_sel:[0,0,1] op_sel_hi:[1,1,0] neg_lo:[0,0,1] neg_hi:[0,0,1]
	v_pk_fma_f32 v[122:123], v[126:127], v[54:55], v[122:123] op_sel:[0,0,1] op_sel_hi:[1,0,0]
	v_pk_fma_f32 v[184:185], v[130:131], v[96:97], v[182:183] op_sel:[0,0,1] op_sel_hi:[1,1,0] neg_lo:[0,0,1] neg_hi:[0,0,1]
	v_mov_b32_e32 v129, v123
	v_pk_add_f32 v[138:139], v[124:125], v[128:129] neg_lo:[0,1] neg_hi:[0,1]
	v_pk_fma_f32 v[130:131], v[130:131], v[96:97], v[182:183] op_sel:[0,0,1] op_sel_hi:[1,0,0]
	v_pk_add_f32 v[136:137], v[136:137], v[138:139]
	ds_read2_b64 v[174:177], v64 offset0:156 offset1:195
	ds_read2_b64 v[178:181], v165 offset0:34 offset1:73
	ds_read_b64 v[138:139], v64 offset:7488
	v_mov_b32_e32 v130, v99
	v_mov_b32_e32 v185, v131
	v_pk_add_f32 v[122:123], v[142:143], v[170:171]
	s_waitcnt lgkmcnt(1)
	v_pk_mul_f32 v[130:131], v[178:179], v[130:131] op_sel_hi:[1,0]
	v_pk_add_f32 v[126:127], v[170:171], v[116:117] neg_lo:[0,1] neg_hi:[0,1]
	v_pk_fma_f32 v[182:183], v[178:179], v[98:99], v[130:131] op_sel:[0,0,1] op_sel_hi:[1,1,0] neg_lo:[0,0,1] neg_hi:[0,0,1]
	v_pk_fma_f32 v[130:131], v[178:179], v[98:99], v[130:131] op_sel:[0,0,1] op_sel_hi:[1,0,0]
	v_pk_add_f32 v[132:133], v[128:129], v[124:125] neg_lo:[0,1] neg_hi:[0,1]
	v_mov_b32_e32 v183, v131
	v_pk_mul_f32 v[130:131], v[134:135], v[92:93] op_sel:[0,1]
	v_pk_add_f32 v[122:123], v[122:123], v[116:117]
	v_pk_fma_f32 v[178:179], v[134:135], v[92:93], v[130:131] op_sel:[0,0,1] op_sel_hi:[1,1,0] neg_lo:[0,0,1] neg_hi:[0,0,1]
	v_pk_fma_f32 v[130:131], v[134:135], v[92:93], v[130:131] op_sel:[0,0,1] op_sel_hi:[1,0,0]
	v_pk_add_f32 v[126:127], v[126:127], v[132:133]
	v_mov_b32_e32 v130, v95
	v_mov_b32_e32 v179, v131
	s_waitcnt lgkmcnt(0)
	v_pk_mul_f32 v[130:131], v[138:139], v[130:131] op_sel_hi:[1,0]
	v_pk_add_f32 v[132:133], v[170:171], v[128:129] neg_lo:[0,1] neg_hi:[0,1]
	v_pk_fma_f32 v[186:187], v[138:139], v[94:95], v[130:131] op_sel:[0,0,1] op_sel_hi:[1,1,0] neg_lo:[0,0,1] neg_hi:[0,0,1]
	v_pk_fma_f32 v[130:131], v[138:139], v[94:95], v[130:131] op_sel:[0,0,1] op_sel_hi:[1,0,0]
	v_pk_add_f32 v[122:123], v[122:123], v[124:125]
	v_mov_b32_e32 v187, v131
	v_pk_add_f32 v[130:131], v[116:117], v[124:125]
	v_pk_mul_f32 v[134:135], v[132:133], s[16:17] op_sel_hi:[1,0]
	v_pk_fma_f32 v[130:131], v[130:131], 0.5, v[142:143] op_sel_hi:[1,0,1] neg_lo:[1,0,0] neg_hi:[1,0,0]
	v_pk_add_f32 v[116:117], v[116:117], v[124:125] neg_lo:[0,1] neg_hi:[0,1]
	v_pk_add_f32 v[124:125], v[170:171], v[128:129]
	v_pk_add_f32 v[122:123], v[122:123], v[128:129]
	v_pk_add_f32 v[138:139], v[130:131], v[134:135] op_sel:[0,1] op_sel_hi:[1,0] neg_lo:[0,1] neg_hi:[0,1]
	v_pk_add_f32 v[130:131], v[130:131], v[134:135] op_sel:[0,1] op_sel_hi:[1,0]
	v_pk_fma_f32 v[124:125], v[124:125], 0.5, v[142:143] op_sel_hi:[1,0,1] neg_lo:[1,0,0] neg_hi:[1,0,0]
	v_pk_mul_f32 v[128:129], v[116:117], s[16:17] op_sel_hi:[1,0]
	v_pk_mul_f32 v[116:117], v[116:117], s[14:15] op_sel_hi:[1,0]
	v_pk_add_f32 v[134:135], v[124:125], v[128:129] op_sel:[0,1] op_sel_hi:[1,0] neg_lo:[0,1] neg_hi:[0,1]
	v_pk_add_f32 v[124:125], v[128:129], v[124:125] op_sel:[1,0] op_sel_hi:[0,1]
	v_pk_mul_f32 v[128:129], v[132:133], s[14:15] op_sel_hi:[1,0]
	v_pk_add_f32 v[138:139], v[138:139], v[116:117] op_sel:[0,1] op_sel_hi:[1,0] neg_lo:[0,1] neg_hi:[0,1]
	v_pk_add_f32 v[116:117], v[130:131], v[116:117] op_sel:[0,1] op_sel_hi:[1,0]
	v_pk_add_f32 v[132:133], v[128:129], v[134:135] op_sel:[1,0] op_sel_hi:[0,1]
	v_pk_add_f32 v[128:129], v[124:125], v[128:129] op_sel:[0,1] op_sel_hi:[1,0] neg_lo:[0,1] neg_hi:[0,1]
	v_mov_b32_e32 v124, v116
	v_mov_b32_e32 v125, v139
	v_mov_b32_e32 v139, v117
	v_pk_add_f32 v[116:117], v[174:175], v[184:185]
	v_mov_b32_e32 v135, v133
	v_pk_add_f32 v[116:117], v[116:117], v[182:183]
	v_mov_b32_e32 v133, v129
	;; [unrolled: 2-line block ×3, first 2 shown]
	v_pk_fma_f32 v[124:125], v[126:127], s[2:3], v[124:125] op_sel_hi:[1,0,1]
	v_pk_fma_f32 v[130:131], v[126:127], s[2:3], v[138:139] op_sel_hi:[1,0,1]
	;; [unrolled: 1-line block ×3, first 2 shown]
	v_pk_add_f32 v[132:133], v[116:117], v[186:187]
	v_pk_add_f32 v[116:117], v[182:183], v[178:179]
	v_pk_fma_f32 v[128:129], v[136:137], s[2:3], v[134:135] op_sel_hi:[1,0,1]
	v_pk_fma_f32 v[116:117], v[116:117], 0.5, v[174:175] op_sel_hi:[1,0,1] neg_lo:[1,0,0] neg_hi:[1,0,0]
	v_pk_add_f32 v[136:137], v[184:185], v[186:187] neg_lo:[0,1] neg_hi:[0,1]
	v_pk_add_f32 v[138:139], v[182:183], v[178:179] neg_lo:[0,1] neg_hi:[0,1]
	v_pk_fma_f32 v[134:135], v[136:137], s[16:17], v[116:117] op_sel:[1,0,0] op_sel_hi:[0,0,1]
	v_pk_fma_f32 v[116:117], v[136:137], s[16:17], v[116:117] op_sel:[1,0,0] op_sel_hi:[0,0,1] neg_lo:[1,0,0] neg_hi:[1,0,0]
	v_pk_fma_f32 v[116:117], v[138:139], s[14:15], v[116:117] op_sel:[1,0,0] op_sel_hi:[0,0,1] neg_lo:[1,0,0] neg_hi:[1,0,0]
	v_pk_fma_f32 v[142:143], v[138:139], s[14:15], v[134:135] op_sel:[1,0,0] op_sel_hi:[0,0,1]
	v_mov_b32_e32 v134, v142
	v_mov_b32_e32 v135, v117
	v_pk_add_f32 v[170:171], v[184:185], v[182:183] neg_lo:[0,1] neg_hi:[0,1]
	v_pk_add_f32 v[188:189], v[186:187], v[178:179] neg_lo:[0,1] neg_hi:[0,1]
	v_mov_b32_e32 v117, v143
	v_pk_add_f32 v[142:143], v[184:185], v[186:187]
	v_pk_add_f32 v[170:171], v[170:171], v[188:189]
	v_pk_fma_f32 v[142:143], v[142:143], 0.5, v[174:175] op_sel_hi:[1,0,1] neg_lo:[1,0,0] neg_hi:[1,0,0]
	v_pk_fma_f32 v[134:135], v[170:171], s[2:3], v[134:135] op_sel_hi:[1,0,1]
	v_pk_fma_f32 v[116:117], v[170:171], s[2:3], v[116:117] op_sel_hi:[1,0,1]
	v_pk_fma_f32 v[170:171], v[138:139], s[16:17], v[142:143] op_sel:[1,0,0] op_sel_hi:[0,0,1] neg_lo:[1,0,0] neg_hi:[1,0,0]
	v_pk_fma_f32 v[138:139], v[138:139], s[16:17], v[142:143] op_sel:[1,0,0] op_sel_hi:[0,0,1]
	v_pk_fma_f32 v[138:139], v[136:137], s[14:15], v[138:139] op_sel:[1,0,0] op_sel_hi:[0,0,1] neg_lo:[1,0,0] neg_hi:[1,0,0]
	v_pk_fma_f32 v[142:143], v[136:137], s[14:15], v[170:171] op_sel:[1,0,0] op_sel_hi:[0,0,1]
	v_pk_add_f32 v[170:171], v[182:183], v[184:185] neg_lo:[0,1] neg_hi:[0,1]
	v_pk_add_f32 v[174:175], v[178:179], v[186:187] neg_lo:[0,1] neg_hi:[0,1]
	ds_read2_b64 v[182:185], v64 offset1:39
	ds_read2_b64 v[186:189], v164 offset0:134 offset1:173
	ds_read2_b64 v[190:193], v166 offset0:12 offset1:51
	v_mov_b32_e32 v136, v142
	v_mov_b32_e32 v137, v139
	v_pk_add_f32 v[170:171], v[170:171], v[174:175]
	v_mov_b32_e32 v139, v143
	v_pk_mul_f32 v[142:143], v[168:169], v[104:105] op_sel:[0,1]
	v_pk_fma_f32 v[136:137], v[170:171], s[2:3], v[136:137] op_sel_hi:[1,0,1]
	v_pk_fma_f32 v[138:139], v[170:171], s[2:3], v[138:139] op_sel_hi:[1,0,1]
	v_pk_fma_f32 v[170:171], v[168:169], v[104:105], v[142:143] op_sel:[0,0,1] op_sel_hi:[1,1,0] neg_lo:[0,0,1] neg_hi:[0,0,1]
	v_pk_fma_f32 v[142:143], v[168:169], v[104:105], v[142:143] op_sel:[0,0,1] op_sel_hi:[1,0,0]
	v_pk_mul_f32 v[178:179], v[176:177], v[112:113] op_sel:[0,1]
	v_mov_b32_e32 v142, v107
	v_mov_b32_e32 v171, v143
	s_waitcnt lgkmcnt(1)
	v_pk_mul_f32 v[142:143], v[188:189], v[142:143] op_sel_hi:[1,0]
	v_mov_b32_e32 v160, v115
	v_pk_fma_f32 v[168:169], v[188:189], v[106:107], v[142:143] op_sel:[0,0,1] op_sel_hi:[1,1,0] neg_lo:[0,0,1] neg_hi:[0,0,1]
	v_pk_fma_f32 v[142:143], v[188:189], v[106:107], v[142:143] op_sel:[0,0,1] op_sel_hi:[1,0,0]
	v_pk_fma_f32 v[188:189], v[176:177], v[112:113], v[178:179] op_sel:[0,0,1] op_sel_hi:[1,1,0] neg_lo:[0,0,1] neg_hi:[0,0,1]
	v_pk_fma_f32 v[176:177], v[176:177], v[112:113], v[178:179] op_sel:[0,0,1] op_sel_hi:[1,0,0]
	v_mov_b32_e32 v169, v143
	v_mov_b32_e32 v189, v177
	v_pk_mul_f32 v[176:177], v[186:187], v[160:161] op_sel_hi:[1,0]
	v_mov_b32_e32 v160, v111
	v_pk_fma_f32 v[178:179], v[186:187], v[114:115], v[176:177] op_sel:[0,0,1] op_sel_hi:[1,1,0] neg_lo:[0,0,1] neg_hi:[0,0,1]
	v_pk_fma_f32 v[176:177], v[186:187], v[114:115], v[176:177] op_sel:[0,0,1] op_sel_hi:[1,0,0]
	v_pk_mul_f32 v[142:143], v[172:173], v[100:101] op_sel:[0,1]
	v_mov_b32_e32 v179, v177
	v_pk_mul_f32 v[176:177], v[180:181], v[108:109] op_sel:[0,1]
	v_pk_fma_f32 v[174:175], v[172:173], v[100:101], v[142:143] op_sel:[0,0,1] op_sel_hi:[1,1,0] neg_lo:[0,0,1] neg_hi:[0,0,1]
	v_pk_fma_f32 v[186:187], v[180:181], v[108:109], v[176:177] op_sel:[0,0,1] op_sel_hi:[1,1,0] neg_lo:[0,0,1] neg_hi:[0,0,1]
	v_pk_fma_f32 v[176:177], v[180:181], v[108:109], v[176:177] op_sel:[0,0,1] op_sel_hi:[1,0,0]
	v_pk_fma_f32 v[142:143], v[172:173], v[100:101], v[142:143] op_sel:[0,0,1] op_sel_hi:[1,0,0]
	v_mov_b32_e32 v187, v177
	s_waitcnt lgkmcnt(0)
	v_pk_mul_f32 v[176:177], v[190:191], v[160:161] op_sel_hi:[1,0]
	v_mov_b32_e32 v142, v103
	v_pk_fma_f32 v[180:181], v[190:191], v[110:111], v[176:177] op_sel:[0,0,1] op_sel_hi:[1,1,0] neg_lo:[0,0,1] neg_hi:[0,0,1]
	v_pk_fma_f32 v[176:177], v[190:191], v[110:111], v[176:177] op_sel:[0,0,1] op_sel_hi:[1,0,0]
	v_mov_b32_e32 v175, v143
	v_mov_b32_e32 v181, v177
	v_pk_add_f32 v[176:177], v[178:179], v[186:187]
	v_pk_mul_f32 v[142:143], v[192:193], v[142:143] op_sel_hi:[1,0]
	v_pk_fma_f32 v[176:177], v[176:177], 0.5, v[182:183] op_sel_hi:[1,0,1] neg_lo:[1,0,0] neg_hi:[1,0,0]
	v_pk_add_f32 v[190:191], v[188:189], v[180:181] neg_lo:[0,1] neg_hi:[0,1]
	v_pk_add_f32 v[194:195], v[188:189], v[178:179] neg_lo:[0,1] neg_hi:[0,1]
	;; [unrolled: 1-line block ×3, first 2 shown]
	v_pk_fma_f32 v[172:173], v[192:193], v[102:103], v[142:143] op_sel:[0,0,1] op_sel_hi:[1,1,0] neg_lo:[0,0,1] neg_hi:[0,0,1]
	v_pk_fma_f32 v[142:143], v[192:193], v[102:103], v[142:143] op_sel:[0,0,1] op_sel_hi:[1,0,0]
	v_pk_add_f32 v[192:193], v[178:179], v[186:187] neg_lo:[0,1] neg_hi:[0,1]
	v_pk_add_f32 v[194:195], v[194:195], v[196:197]
	v_pk_fma_f32 v[196:197], v[190:191], s[16:17], v[176:177] op_sel:[1,0,0] op_sel_hi:[0,0,1]
	v_pk_fma_f32 v[176:177], v[190:191], s[16:17], v[176:177] op_sel:[1,0,0] op_sel_hi:[0,0,1] neg_lo:[1,0,0] neg_hi:[1,0,0]
	v_pk_fma_f32 v[176:177], v[192:193], s[14:15], v[176:177] op_sel:[1,0,0] op_sel_hi:[0,0,1] neg_lo:[1,0,0] neg_hi:[1,0,0]
	v_pk_fma_f32 v[196:197], v[192:193], s[14:15], v[196:197] op_sel:[1,0,0] op_sel_hi:[0,0,1]
	v_mov_b32_e32 v198, v196
	v_mov_b32_e32 v199, v177
	v_pk_add_f32 v[200:201], v[182:183], v[188:189]
	v_pk_fma_f32 v[198:199], v[194:195], s[2:3], v[198:199] op_sel_hi:[1,0,1]
	v_pk_add_f32 v[200:201], v[200:201], v[178:179]
	ds_write_b64 v64, v[198:199] offset:1560
	v_pk_add_f32 v[200:201], v[200:201], v[186:187]
	v_pk_add_f32 v[198:199], v[188:189], v[180:181]
	;; [unrolled: 1-line block ×3, first 2 shown]
	v_pk_fma_f32 v[182:183], v[198:199], 0.5, v[182:183] op_sel_hi:[1,0,1] neg_lo:[1,0,0] neg_hi:[1,0,0]
	v_pk_add_f32 v[178:179], v[178:179], v[188:189] neg_lo:[0,1] neg_hi:[0,1]
	v_pk_add_f32 v[180:181], v[186:187], v[180:181] neg_lo:[0,1] neg_hi:[0,1]
	v_mov_b32_e32 v173, v143
	v_pk_add_f32 v[142:143], v[184:185], v[170:171]
	v_pk_add_f32 v[178:179], v[178:179], v[180:181]
	v_pk_fma_f32 v[180:181], v[192:193], s[16:17], v[182:183] op_sel:[1,0,0] op_sel_hi:[0,0,1] neg_lo:[1,0,0] neg_hi:[1,0,0]
	v_pk_fma_f32 v[182:183], v[192:193], s[16:17], v[182:183] op_sel:[1,0,0] op_sel_hi:[0,0,1]
	v_pk_add_f32 v[142:143], v[142:143], v[168:169]
	v_pk_fma_f32 v[182:183], v[190:191], s[14:15], v[182:183] op_sel:[1,0,0] op_sel_hi:[0,0,1] neg_lo:[1,0,0] neg_hi:[1,0,0]
	v_pk_fma_f32 v[180:181], v[190:191], s[14:15], v[180:181] op_sel:[1,0,0] op_sel_hi:[0,0,1]
	v_pk_add_f32 v[142:143], v[142:143], v[174:175]
	v_mov_b32_e32 v186, v180
	v_mov_b32_e32 v187, v183
	;; [unrolled: 1-line block ×4, first 2 shown]
	v_pk_add_f32 v[142:143], v[142:143], v[172:173]
	v_pk_fma_f32 v[186:187], v[178:179], s[2:3], v[186:187] op_sel_hi:[1,0,1]
	v_pk_fma_f32 v[178:179], v[178:179], s[2:3], v[182:183] op_sel_hi:[1,0,1]
	;; [unrolled: 1-line block ×3, first 2 shown]
	ds_write_b64 v64, v[186:187] offset:3120
	ds_write_b64 v64, v[178:179] offset:4680
	;; [unrolled: 1-line block ×3, first 2 shown]
	ds_write2_b64 v64, v[200:201], v[142:143] offset1:39
	v_pk_add_f32 v[142:143], v[168:169], v[174:175]
	v_pk_add_f32 v[176:177], v[170:171], v[172:173] neg_lo:[0,1] neg_hi:[0,1]
	v_pk_fma_f32 v[142:143], v[142:143], 0.5, v[184:185] op_sel_hi:[1,0,1] neg_lo:[1,0,0] neg_hi:[1,0,0]
	v_pk_mul_f32 v[178:179], v[176:177], s[16:17] op_sel_hi:[1,0]
	v_pk_add_f32 v[180:181], v[168:169], v[174:175] neg_lo:[0,1] neg_hi:[0,1]
	v_pk_add_f32 v[186:187], v[170:171], v[168:169] neg_lo:[0,1] neg_hi:[0,1]
	;; [unrolled: 1-line block ×3, first 2 shown]
	v_pk_mul_f32 v[182:183], v[180:181], s[14:15] op_sel_hi:[1,0]
	v_pk_add_f32 v[186:187], v[186:187], v[188:189]
	v_pk_add_f32 v[188:189], v[142:143], v[178:179] op_sel:[0,1] op_sel_hi:[1,0]
	v_pk_add_f32 v[142:143], v[142:143], v[178:179] op_sel:[0,1] op_sel_hi:[1,0] neg_lo:[0,1] neg_hi:[0,1]
	v_pk_add_f32 v[178:179], v[188:189], v[182:183] op_sel:[0,1] op_sel_hi:[1,0]
	v_pk_add_f32 v[142:143], v[142:143], v[182:183] op_sel:[0,1] op_sel_hi:[1,0] neg_lo:[0,1] neg_hi:[0,1]
	v_mov_b32_e32 v182, v178
	v_mov_b32_e32 v183, v143
	v_pk_fma_f32 v[182:183], v[186:187], s[2:3], v[182:183] op_sel_hi:[1,0,1]
	ds_write_b64 v64, v[182:183] offset:1872
	v_pk_add_f32 v[182:183], v[170:171], v[172:173]
	v_pk_add_f32 v[168:169], v[168:169], v[170:171] neg_lo:[0,1] neg_hi:[0,1]
	v_pk_add_f32 v[170:171], v[174:175], v[172:173] neg_lo:[0,1] neg_hi:[0,1]
	v_pk_fma_f32 v[182:183], v[182:183], 0.5, v[184:185] op_sel_hi:[1,0,1] neg_lo:[1,0,0] neg_hi:[1,0,0]
	v_pk_add_f32 v[168:169], v[168:169], v[170:171]
	v_pk_mul_f32 v[170:171], v[180:181], s[16:17] op_sel_hi:[1,0]
	v_pk_add_f32 v[0:1], v[140:141], v[0:1]
	v_pk_mul_f32 v[172:173], v[176:177], s[14:15] op_sel_hi:[1,0]
	v_pk_add_f32 v[174:175], v[182:183], v[170:171] op_sel:[0,1] op_sel_hi:[1,0] neg_lo:[0,1] neg_hi:[0,1]
	v_pk_add_f32 v[170:171], v[182:183], v[170:171] op_sel:[0,1] op_sel_hi:[1,0]
	v_pk_add_f32 v[0:1], v[0:1], v[148:149]
	v_pk_add_f32 v[170:171], v[170:171], v[172:173] op_sel:[0,1] op_sel_hi:[1,0] neg_lo:[0,1] neg_hi:[0,1]
	v_pk_add_f32 v[172:173], v[174:175], v[172:173] op_sel:[0,1] op_sel_hi:[1,0]
	v_pk_add_f32 v[0:1], v[0:1], v[2:3]
	v_mov_b32_e32 v174, v172
	v_mov_b32_e32 v175, v171
	v_mov_b32_e32 v171, v173
	v_mov_b32_e32 v143, v179
	v_pk_add_f32 v[0:1], v[0:1], v[150:151]
	v_mov_b32_e32 v159, v163
	v_pk_fma_f32 v[174:175], v[168:169], s[2:3], v[174:175] op_sel_hi:[1,0,1]
	v_pk_fma_f32 v[168:169], v[168:169], s[2:3], v[170:171] op_sel_hi:[1,0,1]
	v_pk_fma_f32 v[142:143], v[186:187], s[2:3], v[142:143] op_sel_hi:[1,0,1]
	v_pk_fma_f32 v[2:3], v[154:155], s[2:3], v[158:159] op_sel_hi:[1,0,1]
	v_mov_b32_e32 v157, v161
	ds_write2_b64 v64, v[0:1], v[122:123] offset0:78 offset1:117
	v_add_u32_e32 v0, 0x800, v4
	v_add_u32_e32 v1, 0x1000, v4
	ds_write_b64 v64, v[174:175] offset:3432
	ds_write_b64 v64, v[168:169] offset:4992
	;; [unrolled: 1-line block ×3, first 2 shown]
	v_pk_fma_f32 v[140:141], v[152:153], s[2:3], v[156:157] op_sel_hi:[1,0,1]
	ds_write2_b64 v0, v[2:3], v[124:125] offset0:17 offset1:56
	ds_write2_b64 v1, v[30:31], v[128:129] offset0:151 offset1:190
	ds_write_b64 v64, v[132:133] offset:1248
	ds_write2_b64 v0, v[134:135], v[140:141] offset0:95 offset1:212
	v_add_u32_e32 v0, 0xc00, v4
	ds_write2_b64 v0, v[126:127], v[136:137] offset0:123 offset1:162
	v_add_u32_e32 v0, 0x1400, v4
	;; [unrolled: 2-line block ×3, first 2 shown]
	ds_write2_b64 v0, v[130:131], v[116:117] offset0:129 offset1:168
	v_add_co_u32_e64 v0, s[2:3], s15, v146
	s_waitcnt lgkmcnt(0)
	s_nop 0
	v_addc_co_u32_e64 v1, s[2:3], 0, v147, s[2:3]
	s_barrier
	global_load_dwordx2 v[2:3], v[0:1], off offset:3704
	s_mov_b64 s[2:3], 0x1e78
	v_lshl_add_u64 v[0:1], v[146:147], 0, s[2:3]
	global_load_dwordx2 v[148:149], v[0:1], off offset:600
	global_load_dwordx2 v[150:151], v[0:1], off offset:1200
	;; [unrolled: 1-line block ×5, first 2 shown]
	s_movk_i32 s2, 0x2000
	v_add_co_u32_e64 v140, s[2:3], s2, v146
	s_nop 1
	v_addc_co_u32_e64 v141, s[2:3], 0, v147, s[2:3]
	global_load_dwordx2 v[158:159], v[140:141], off offset:3808
	global_load_dwordx2 v[160:161], v[0:1], off offset:3600
	s_movk_i32 s2, 0x3000
	v_add_co_u32_e64 v140, s[2:3], s2, v146
	s_nop 1
	v_addc_co_u32_e64 v141, s[2:3], 0, v147, s[2:3]
	global_load_dwordx2 v[162:163], v[140:141], off offset:312
	global_load_dwordx2 v[168:169], v[140:141], off offset:912
	;; [unrolled: 1-line block ×5, first 2 shown]
	ds_read2_b64 v[140:143], v64 offset1:75
	ds_read2_b64 v[144:147], v64 offset0:150 offset1:225
	s_waitcnt vmcnt(12) lgkmcnt(1)
	v_mul_f32_e32 v4, v141, v3
	v_mul_f32_e32 v177, v140, v3
	v_fma_f32 v176, v140, v2, -v4
	v_fmac_f32_e32 v177, v141, v2
	s_waitcnt vmcnt(11)
	v_mul_f32_e32 v2, v143, v149
	v_mul_f32_e32 v3, v142, v149
	v_fma_f32 v2, v142, v148, -v2
	v_fmac_f32_e32 v3, v143, v148
	ds_read2_b64 v[140:143], v164 offset0:44 offset1:119
	ds_write2_b64 v64, v[176:177], v[2:3] offset1:75
	s_waitcnt vmcnt(10) lgkmcnt(2)
	v_mul_f32_e32 v3, v144, v151
	v_mul_f32_e32 v2, v145, v151
	v_fmac_f32_e32 v3, v145, v150
	s_waitcnt vmcnt(9)
	v_mul_f32_e32 v4, v147, v153
	v_mul_f32_e32 v145, v146, v153
	v_fma_f32 v2, v144, v150, -v2
	v_fma_f32 v144, v146, v152, -v4
	v_fmac_f32_e32 v145, v147, v152
	ds_write2_b64 v64, v[2:3], v[144:145] offset0:150 offset1:225
	s_waitcnt vmcnt(8) lgkmcnt(2)
	v_mul_f32_e32 v2, v141, v155
	v_fma_f32 v148, v140, v154, -v2
	v_mul_f32_e32 v149, v140, v155
	v_add_u32_e32 v2, 0xc00, v64
	v_fmac_f32_e32 v149, v141, v154
	s_waitcnt vmcnt(7)
	v_mul_f32_e32 v3, v143, v157
	ds_read2_b64 v[144:147], v2 offset0:66 offset1:141
	v_mul_f32_e32 v141, v142, v157
	v_fma_f32 v140, v142, v156, -v3
	v_fmac_f32_e32 v141, v143, v156
	ds_write2_b64 v164, v[148:149], v[140:141] offset0:44 offset1:119
	ds_read2_b64 v[140:143], v165 offset0:88 offset1:163
	s_waitcnt vmcnt(5) lgkmcnt(2)
	v_mul_f32_e32 v3, v145, v161
	v_mul_f32_e32 v149, v144, v161
	v_fma_f32 v148, v144, v160, -v3
	v_fmac_f32_e32 v149, v145, v160
	v_mul_f32_e32 v3, v147, v159
	v_mul_f32_e32 v145, v146, v159
	v_fma_f32 v144, v146, v158, -v3
	v_fmac_f32_e32 v145, v147, v158
	s_waitcnt vmcnt(4) lgkmcnt(0)
	v_mul_f32_e32 v3, v141, v163
	ds_write2_b64 v2, v[148:149], v[144:145] offset0:66 offset1:141
	v_fma_f32 v148, v140, v162, -v3
	v_add_u32_e32 v3, 0x1400, v64
	ds_read2_b64 v[144:147], v3 offset0:110 offset1:185
	v_mul_f32_e32 v149, v140, v163
	v_fmac_f32_e32 v149, v141, v162
	s_waitcnt vmcnt(3)
	v_mul_f32_e32 v4, v143, v169
	v_mul_f32_e32 v141, v142, v169
	v_fma_f32 v140, v142, v168, -v4
	v_fmac_f32_e32 v141, v143, v168
	ds_read_b64 v[142:143], v64 offset:7200
	ds_write2_b64 v165, v[148:149], v[140:141] offset0:88 offset1:163
	s_waitcnt vmcnt(2) lgkmcnt(2)
	v_mul_f32_e32 v4, v145, v171
	v_mul_f32_e32 v141, v144, v171
	v_fma_f32 v140, v144, v170, -v4
	v_fmac_f32_e32 v141, v145, v170
	s_waitcnt vmcnt(1)
	v_mul_f32_e32 v4, v147, v173
	v_mul_f32_e32 v145, v146, v173
	v_fma_f32 v144, v146, v172, -v4
	v_fmac_f32_e32 v145, v147, v172
	ds_write2_b64 v3, v[140:141], v[144:145] offset0:110 offset1:185
	s_waitcnt vmcnt(0) lgkmcnt(2)
	v_mul_f32_e32 v4, v143, v175
	v_mul_f32_e32 v141, v142, v175
	v_fma_f32 v140, v142, v174, -v4
	v_fmac_f32_e32 v141, v143, v174
	ds_write_b64 v64, v[140:141] offset:7200
	s_and_saveexec_b64 s[8:9], vcc
	s_cbranch_execz .LBB0_13
; %bb.12:
	global_load_dwordx2 v[144:145], v[0:1], off offset:312
	ds_read2_b64 v[140:143], v64 offset0:39 offset1:114
	s_waitcnt vmcnt(0) lgkmcnt(0)
	v_mul_f32_e32 v4, v141, v145
	v_mul_f32_e32 v147, v140, v145
	v_fma_f32 v146, v140, v144, -v4
	v_fmac_f32_e32 v147, v141, v144
	global_load_dwordx2 v[140:141], v[0:1], off offset:912
	s_waitcnt vmcnt(0)
	v_mul_f32_e32 v4, v143, v141
	v_mul_f32_e32 v145, v142, v141
	v_fma_f32 v144, v142, v140, -v4
	v_fmac_f32_e32 v145, v143, v140
	ds_write2_b64 v64, v[146:147], v[144:145] offset0:39 offset1:114
	global_load_dwordx2 v[144:145], v[0:1], off offset:1512
	ds_read2_b64 v[140:143], v167 offset0:61 offset1:136
	s_waitcnt vmcnt(0) lgkmcnt(0)
	v_mul_f32_e32 v4, v141, v145
	v_mul_f32_e32 v147, v140, v145
	v_fma_f32 v146, v140, v144, -v4
	v_fmac_f32_e32 v147, v141, v144
	global_load_dwordx2 v[140:141], v[0:1], off offset:2112
	s_waitcnt vmcnt(0)
	v_mul_f32_e32 v4, v143, v141
	v_mul_f32_e32 v145, v142, v141
	v_fma_f32 v144, v142, v140, -v4
	v_fmac_f32_e32 v145, v143, v140
	ds_write2_b64 v167, v[146:147], v[144:145] offset0:61 offset1:136
	;; [unrolled: 14-line block ×3, first 2 shown]
	global_load_dwordx2 v[144:145], v[0:1], off offset:3912
	ds_read2_b64 v[140:143], v2 offset0:105 offset1:180
	v_add_co_u32_e64 v0, s[2:3], s15, v0
	s_waitcnt vmcnt(0) lgkmcnt(0)
	v_mul_f32_e32 v4, v141, v145
	v_mul_f32_e32 v147, v140, v145
	v_addc_co_u32_e64 v1, s[2:3], 0, v1, s[2:3]
	v_fma_f32 v146, v140, v144, -v4
	v_fmac_f32_e32 v147, v141, v144
	global_load_dwordx2 v[140:141], v[0:1], off offset:416
	s_waitcnt vmcnt(0)
	v_mul_f32_e32 v4, v143, v141
	v_mul_f32_e32 v145, v142, v141
	v_fma_f32 v144, v142, v140, -v4
	v_fmac_f32_e32 v145, v143, v140
	ds_write2_b64 v2, v[146:147], v[144:145] offset0:105 offset1:180
	global_load_dwordx2 v[144:145], v[0:1], off offset:1016
	ds_read2_b64 v[140:143], v165 offset0:127 offset1:202
	s_waitcnt vmcnt(0) lgkmcnt(0)
	v_mul_f32_e32 v4, v141, v145
	v_mul_f32_e32 v147, v140, v145
	v_fma_f32 v146, v140, v144, -v4
	v_fmac_f32_e32 v147, v141, v144
	global_load_dwordx2 v[140:141], v[0:1], off offset:1616
	s_waitcnt vmcnt(0)
	v_mul_f32_e32 v4, v143, v141
	v_mul_f32_e32 v145, v142, v141
	v_fma_f32 v144, v142, v140, -v4
	v_fmac_f32_e32 v145, v143, v140
	ds_write2_b64 v165, v[146:147], v[144:145] offset0:127 offset1:202
	global_load_dwordx2 v[144:145], v[0:1], off offset:2216
	ds_read2_b64 v[140:143], v166 offset0:21 offset1:96
	s_waitcnt vmcnt(0) lgkmcnt(0)
	v_mul_f32_e32 v4, v141, v145
	v_mul_f32_e32 v147, v140, v145
	v_fma_f32 v146, v140, v144, -v4
	v_fmac_f32_e32 v147, v141, v144
	global_load_dwordx2 v[140:141], v[0:1], off offset:2816
	s_waitcnt vmcnt(0)
	v_mul_f32_e32 v4, v143, v141
	global_load_dwordx2 v[0:1], v[0:1], off offset:3416
	v_mul_f32_e32 v145, v142, v141
	v_fma_f32 v144, v142, v140, -v4
	v_fmac_f32_e32 v145, v143, v140
	ds_read_b64 v[140:141], v64 offset:7512
	ds_write2_b64 v166, v[146:147], v[144:145] offset0:21 offset1:96
	s_waitcnt vmcnt(0) lgkmcnt(1)
	v_mul_f32_e32 v4, v141, v1
	v_mul_f32_e32 v143, v140, v1
	v_fma_f32 v142, v140, v0, -v4
	v_fmac_f32_e32 v143, v141, v0
	ds_write_b64 v64, v[142:143] offset:7512
.LBB0_13:
	s_or_b64 exec, exec, s[8:9]
	s_waitcnt lgkmcnt(0)
	s_barrier
	ds_read2_b64 v[140:143], v64 offset1:75
	ds_read2_b64 v[156:159], v64 offset0:150 offset1:225
	ds_read2_b64 v[148:151], v164 offset0:44 offset1:119
	;; [unrolled: 1-line block ×5, first 2 shown]
	ds_read_b64 v[0:1], v64 offset:7200
	s_and_saveexec_b64 s[2:3], vcc
	s_cbranch_execz .LBB0_15
; %bb.14:
	v_accvgpr_read_b32 v2, a10
	v_lshl_add_u32 v2, v2, 3, v28
	v_add_u32_e32 v3, 0x800, v2
	ds_read_b64 v[30:31], v64 offset:312
	ds_read2_b64 v[120:123], v2 offset0:114 offset1:189
	ds_read2_b64 v[124:127], v3 offset0:8 offset1:83
	;; [unrolled: 1-line block ×3, first 2 shown]
	v_add_u32_e32 v3, 0x1000, v2
	ds_read2_b64 v[132:135], v3 offset0:52 offset1:127
	v_add_u32_e32 v3, 0x1400, v2
	v_add_u32_e32 v2, 0x1800, v2
	ds_read2_b64 v[136:139], v3 offset0:74 offset1:149
	ds_read2_b64 v[116:119], v2 offset0:96 offset1:171
.LBB0_15:
	s_or_b64 exec, exec, s[2:3]
	s_waitcnt lgkmcnt(6)
	v_pk_add_f32 v[2:3], v[140:141], v[142:143]
	s_mov_b32 s2, 0x3f62ad3f
	s_waitcnt lgkmcnt(5)
	v_pk_add_f32 v[2:3], v[2:3], v[156:157]
	s_mov_b32 s24, 0xbeedf032
	v_pk_add_f32 v[2:3], v[2:3], v[158:159]
	s_mov_b32 s25, s2
	s_waitcnt lgkmcnt(4)
	v_pk_add_f32 v[2:3], v[2:3], v[148:149]
	s_mov_b32 s14, 0xbf52af12
	v_pk_add_f32 v[2:3], v[2:3], v[150:151]
	s_waitcnt lgkmcnt(0)
	v_pk_add_f32 v[178:179], v[142:143], v[0:1] neg_lo:[0,1] neg_hi:[0,1]
	v_pk_add_f32 v[2:3], v[2:3], v[144:145]
	s_mov_b32 s3, s24
	v_pk_add_f32 v[2:3], v[2:3], v[146:147]
	s_mov_b32 s15, 0x3f116cb1
	v_pk_add_f32 v[2:3], v[2:3], v[152:153]
	v_pk_add_f32 v[224:225], v[0:1], v[142:143]
	;; [unrolled: 1-line block ×5, first 2 shown]
	s_mov_b32 s44, s15
	v_pk_add_f32 v[2:3], v[2:3], v[162:163]
	v_pk_add_f32 v[162:163], v[156:157], v[162:163] neg_lo:[0,1] neg_hi:[0,1]
	v_pk_add_f32 v[2:3], v[2:3], v[0:1]
	v_pk_mul_f32 v[0:1], v[178:179], s[24:25] op_sel_hi:[1,0]
	v_pk_mul_f32 v[142:143], v[162:163], s[14:15] op_sel_hi:[1,0]
	v_pk_fma_f32 v[4:5], v[224:225], s[2:3], v[0:1] op_sel:[0,0,1] op_sel_hi:[1,0,0]
	v_pk_fma_f32 v[246:247], v[224:225], s[2:3], v[0:1] op_sel:[0,0,1] op_sel_hi:[1,0,0] neg_lo:[0,0,1] neg_hi:[0,0,1]
	s_mov_b32 s18, 0xbf7e222b
	v_mov_b32_e32 v0, v4
	v_mov_b32_e32 v29, v5
	;; [unrolled: 1-line block ×3, first 2 shown]
	v_pk_fma_f32 v[4:5], v[230:231], s[44:45], v[142:143] op_sel:[0,0,1] op_sel_hi:[1,0,0]
	v_pk_fma_f32 v[250:251], v[230:231], s[44:45], v[142:143] op_sel:[0,0,1] op_sel_hi:[1,0,0] neg_lo:[0,0,1] neg_hi:[0,0,1]
	s_mov_b32 s19, 0x3df6dbef
	v_pk_add_f32 v[0:1], v[140:141], v[0:1]
	v_mov_b32_e32 v142, v4
	v_mov_b32_e32 v143, v251
	v_pk_add_f32 v[156:157], v[160:161], v[158:159]
	v_pk_add_f32 v[158:159], v[158:159], v[160:161] neg_lo:[0,1] neg_hi:[0,1]
	v_pk_add_f32 v[0:1], v[142:143], v[0:1]
	s_mov_b32 s38, s19
	v_pk_mul_f32 v[142:143], v[158:159], s[18:19] op_sel_hi:[1,0]
	s_mov_b32 s8, 0xbf6f5d39
	v_accvgpr_write_b32 a83, v5
	v_pk_fma_f32 v[4:5], v[156:157], s[38:39], v[142:143] op_sel:[0,0,1] op_sel_hi:[1,0,0]
	v_pk_fma_f32 v[254:255], v[156:157], s[38:39], v[142:143] op_sel:[0,0,1] op_sel_hi:[1,0,0] neg_lo:[0,0,1] neg_hi:[0,0,1]
	s_mov_b32 s9, 0xbeb58ec6
	v_mov_b32_e32 v142, v4
	v_mov_b32_e32 v143, v255
	v_pk_add_f32 v[240:241], v[154:155], v[148:149]
	v_pk_add_f32 v[148:149], v[148:149], v[154:155] neg_lo:[0,1] neg_hi:[0,1]
	v_pk_add_f32 v[0:1], v[142:143], v[0:1]
	s_mov_b32 s46, s9
	v_pk_mul_f32 v[142:143], v[148:149], s[8:9] op_sel_hi:[1,0]
	s_mov_b32 s12, 0xbf29c268
	v_accvgpr_write_b32 a85, v5
	v_pk_fma_f32 v[4:5], v[240:241], s[46:47], v[142:143] op_sel:[0,0,1] op_sel_hi:[1,0,0]
	v_pk_fma_f32 v[166:167], v[240:241], s[46:47], v[142:143] op_sel:[0,0,1] op_sel_hi:[1,0,0] neg_lo:[0,0,1] neg_hi:[0,0,1]
	s_mov_b32 s13, 0xbf3f9e67
	;; [unrolled: 12-line block ×3, first 2 shown]
	v_mov_b32_e32 v142, v4
	v_mov_b32_e32 v143, v171
	v_pk_add_f32 v[152:153], v[146:147], v[144:145]
	v_pk_add_f32 v[144:145], v[144:145], v[146:147] neg_lo:[0,1] neg_hi:[0,1]
	v_pk_add_f32 v[0:1], v[142:143], v[0:1]
	s_mov_b32 s50, s17
	v_pk_mul_f32 v[142:143], v[144:145], s[16:17] op_sel_hi:[1,0]
	v_accvgpr_write_b32 a91, v5
	v_pk_fma_f32 v[4:5], v[152:153], s[50:51], v[142:143] op_sel:[0,0,1] op_sel_hi:[1,0,0]
	v_pk_fma_f32 v[176:177], v[152:153], s[50:51], v[142:143] op_sel:[0,0,1] op_sel_hi:[1,0,0] neg_lo:[0,0,1] neg_hi:[0,0,1]
	v_mov_b32_e32 v142, v4
	v_mov_b32_e32 v143, v177
	v_pk_add_f32 v[0:1], v[142:143], v[0:1]
	s_barrier
	ds_write2_b64 v65, v[2:3], v[0:1] offset1:1
	v_pk_mul_f32 v[0:1], v[178:179], s[14:15] op_sel_hi:[1,0]
	v_accvgpr_write_b32 a93, v5
	v_pk_fma_f32 v[2:3], v[224:225], s[44:45], v[0:1] op_sel:[0,0,1] op_sel_hi:[1,0,0]
	v_pk_fma_f32 v[180:181], v[224:225], s[44:45], v[0:1] op_sel:[0,0,1] op_sel_hi:[1,0,0] neg_lo:[0,0,1] neg_hi:[0,0,1]
	v_mov_b32_e32 v0, v2
	v_mov_b32_e32 v167, v3
	v_pk_mul_f32 v[2:3], v[162:163], s[8:9] op_sel_hi:[1,0]
	v_mov_b32_e32 v1, v181
	v_pk_fma_f32 v[4:5], v[230:231], s[46:47], v[2:3] op_sel:[0,0,1] op_sel_hi:[1,0,0]
	v_pk_fma_f32 v[186:187], v[230:231], s[46:47], v[2:3] op_sel:[0,0,1] op_sel_hi:[1,0,0] neg_lo:[0,0,1] neg_hi:[0,0,1]
	v_pk_add_f32 v[0:1], v[140:141], v[0:1]
	v_mov_b32_e32 v2, v4
	v_mov_b32_e32 v3, v187
	v_pk_add_f32 v[0:1], v[2:3], v[0:1]
	v_pk_mul_f32 v[2:3], v[158:159], s[16:17] op_sel_hi:[1,0]
	v_mov_b32_e32 v171, v5
	v_pk_fma_f32 v[4:5], v[156:157], s[50:51], v[2:3] op_sel:[0,0,1] op_sel_hi:[1,0,0]
	v_pk_fma_f32 v[190:191], v[156:157], s[50:51], v[2:3] op_sel:[0,0,1] op_sel_hi:[1,0,0] neg_lo:[0,0,1] neg_hi:[0,0,1]
	v_mov_b32_e32 v2, v4
	v_mov_b32_e32 v3, v191
	s_mov_b32 s34, 0x3f29c268
	v_pk_add_f32 v[0:1], v[2:3], v[0:1]
	v_pk_mul_f32 v[2:3], v[148:149], s[34:35] op_sel_hi:[1,0]
	v_mov_b32_e32 v177, v5
	v_pk_fma_f32 v[4:5], v[240:241], s[48:49], v[2:3] op_sel:[0,0,1] op_sel_hi:[1,0,0]
	v_pk_fma_f32 v[194:195], v[240:241], s[48:49], v[2:3] op_sel:[0,0,1] op_sel_hi:[1,0,0] neg_lo:[0,0,1] neg_hi:[0,0,1]
	v_mov_b32_e32 v2, v4
	v_mov_b32_e32 v3, v195
	s_mov_b32 s20, 0x3f7e222b
	;; [unrolled: 8-line block ×3, first 2 shown]
	v_pk_add_f32 v[0:1], v[2:3], v[0:1]
	v_pk_mul_f32 v[2:3], v[144:145], s[22:23] op_sel_hi:[1,0]
	v_pk_add_f32 v[164:165], v[120:121], v[118:119] neg_lo:[0,1] neg_hi:[0,1]
	v_pk_add_f32 v[222:223], v[120:121], v[118:119]
	v_mov_b32_e32 v251, v5
	v_pk_fma_f32 v[4:5], v[152:153], s[2:3], v[2:3] op_sel:[0,0,1] op_sel_hi:[1,0,0]
	v_pk_fma_f32 v[142:143], v[152:153], s[2:3], v[2:3] op_sel:[0,0,1] op_sel_hi:[1,0,0] neg_lo:[0,0,1] neg_hi:[0,0,1]
	v_mov_b32_e32 v200, v222
	v_mov_b32_e32 v201, v164
	;; [unrolled: 1-line block ×3, first 2 shown]
	v_pk_add_f32 v[164:165], v[122:123], v[116:117] neg_lo:[0,1] neg_hi:[0,1]
	v_pk_add_f32 v[220:221], v[122:123], v[116:117]
	v_mov_b32_e32 v2, v4
	v_mov_b32_e32 v3, v143
	;; [unrolled: 1-line block ×5, first 2 shown]
	v_pk_add_f32 v[164:165], v[124:125], v[138:139] neg_lo:[0,1] neg_hi:[0,1]
	v_pk_add_f32 v[218:219], v[124:125], v[138:139]
	v_pk_add_f32 v[146:147], v[2:3], v[0:1]
	v_pk_mul_f32 v[0:1], v[178:179], s[18:19] op_sel_hi:[1,0]
	v_mov_b32_e32 v204, v218
	v_mov_b32_e32 v205, v164
	;; [unrolled: 1-line block ×3, first 2 shown]
	v_pk_add_f32 v[164:165], v[126:127], v[136:137] neg_lo:[0,1] neg_hi:[0,1]
	v_pk_add_f32 v[216:217], v[126:127], v[136:137]
	v_mov_b32_e32 v255, v5
	v_pk_fma_f32 v[4:5], v[224:225], s[38:39], v[0:1] op_sel:[0,0,1] op_sel_hi:[1,0,0]
	v_pk_fma_f32 v[2:3], v[224:225], s[38:39], v[0:1] op_sel:[0,0,1] op_sel_hi:[1,0,0] neg_lo:[0,0,1] neg_hi:[0,0,1]
	v_mov_b32_e32 v206, v216
	v_mov_b32_e32 v207, v164
	;; [unrolled: 1-line block ×3, first 2 shown]
	v_pk_add_f32 v[164:165], v[128:129], v[134:135] neg_lo:[0,1] neg_hi:[0,1]
	v_pk_add_f32 v[214:215], v[128:129], v[134:135]
	v_mov_b32_e32 v0, v4
	v_mov_b32_e32 v1, v3
	;; [unrolled: 1-line block ×5, first 2 shown]
	v_pk_add_f32 v[164:165], v[130:131], v[132:133] neg_lo:[0,1] neg_hi:[0,1]
	v_pk_add_f32 v[212:213], v[130:131], v[132:133]
	v_pk_add_f32 v[160:161], v[140:141], v[0:1]
	v_pk_mul_f32 v[0:1], v[162:163], s[16:17] op_sel_hi:[1,0]
	v_mov_b32_e32 v210, v212
	v_mov_b32_e32 v211, v164
	;; [unrolled: 1-line block ×3, first 2 shown]
	v_pk_fma_f32 v[164:165], v[230:231], s[50:51], v[0:1] op_sel:[0,0,1] op_sel_hi:[1,0,0]
	v_pk_fma_f32 v[0:1], v[230:231], s[50:51], v[0:1] op_sel:[0,0,1] op_sel_hi:[1,0,0] neg_lo:[0,0,1] neg_hi:[0,0,1]
	v_mov_b32_e32 v181, v165
	v_mov_b32_e32 v165, v1
	s_mov_b32 s42, 0x3f6f5d39
	v_pk_add_f32 v[160:161], v[164:165], v[160:161]
	v_pk_mul_f32 v[164:165], v[158:159], s[42:43] op_sel_hi:[1,0]
	v_mov_b32_e32 v143, v5
	v_pk_fma_f32 v[168:169], v[156:157], s[46:47], v[164:165] op_sel:[0,0,1] op_sel_hi:[1,0,0]
	v_pk_fma_f32 v[164:165], v[156:157], s[46:47], v[164:165] op_sel:[0,0,1] op_sel_hi:[1,0,0] neg_lo:[0,0,1] neg_hi:[0,0,1]
	v_mov_b32_e32 v187, v169
	v_mov_b32_e32 v169, v165
	v_pk_add_f32 v[160:161], v[168:169], v[160:161]
	v_pk_mul_f32 v[168:169], v[148:149], s[22:23] op_sel_hi:[1,0]
	s_mov_b32 s40, 0x3e750f2a
	v_pk_fma_f32 v[172:173], v[240:241], s[2:3], v[168:169] op_sel:[0,0,1] op_sel_hi:[1,0,0]
	v_pk_fma_f32 v[168:169], v[240:241], s[2:3], v[168:169] op_sel:[0,0,1] op_sel_hi:[1,0,0] neg_lo:[0,0,1] neg_hi:[0,0,1]
	v_mov_b32_e32 v191, v173
	v_mov_b32_e32 v173, v169
	v_pk_add_f32 v[160:161], v[172:173], v[160:161]
	v_pk_mul_f32 v[172:173], v[150:151], s[14:15] op_sel_hi:[1,0]
	s_mov_b32 s36, 0x3f52af12
	v_pk_fma_f32 v[174:175], v[154:155], s[44:45], v[172:173] op_sel:[0,0,1] op_sel_hi:[1,0,0]
	v_pk_fma_f32 v[172:173], v[154:155], s[44:45], v[172:173] op_sel:[0,0,1] op_sel_hi:[1,0,0] neg_lo:[0,0,1] neg_hi:[0,0,1]
	v_mov_b32_e32 v195, v175
	v_mov_b32_e32 v175, v173
	v_pk_add_f32 v[160:161], v[174:175], v[160:161]
	v_pk_mul_f32 v[174:175], v[144:145], s[12:13] op_sel_hi:[1,0]
	v_pk_mul_f32 v[188:189], v[162:163], s[20:21] op_sel_hi:[1,0]
	v_pk_fma_f32 v[182:183], v[152:153], s[48:49], v[174:175] op_sel:[0,0,1] op_sel_hi:[1,0,0]
	v_pk_fma_f32 v[174:175], v[152:153], s[48:49], v[174:175] op_sel:[0,0,1] op_sel_hi:[1,0,0] neg_lo:[0,0,1] neg_hi:[0,0,1]
	v_mov_b32_e32 v197, v183
	v_mov_b32_e32 v183, v175
	v_pk_add_f32 v[160:161], v[182:183], v[160:161]
	ds_write2_b64 v65, v[146:147], v[160:161] offset0:2 offset1:3
	v_pk_mul_f32 v[146:147], v[178:179], s[8:9] op_sel_hi:[1,0]
	v_pk_mul_f32 v[182:183], v[162:163], s[34:35] op_sel_hi:[1,0]
	v_pk_fma_f32 v[160:161], v[224:225], s[46:47], v[146:147] op_sel:[0,0,1] op_sel_hi:[1,0,0]
	v_pk_fma_f32 v[228:229], v[224:225], s[46:47], v[146:147] op_sel:[0,0,1] op_sel_hi:[1,0,0] neg_lo:[0,0,1] neg_hi:[0,0,1]
	v_mov_b32_e32 v146, v160
	v_mov_b32_e32 v147, v229
	v_pk_fma_f32 v[226:227], v[230:231], s[48:49], v[182:183] op_sel:[0,0,1] op_sel_hi:[1,0,0]
	v_pk_fma_f32 v[234:235], v[230:231], s[48:49], v[182:183] op_sel:[0,0,1] op_sel_hi:[1,0,0] neg_lo:[0,0,1] neg_hi:[0,0,1]
	v_pk_add_f32 v[146:147], v[140:141], v[146:147]
	v_mov_b32_e32 v182, v226
	v_mov_b32_e32 v183, v235
	v_pk_add_f32 v[146:147], v[182:183], v[146:147]
	v_pk_mul_f32 v[182:183], v[158:159], s[22:23] op_sel_hi:[1,0]
	v_pk_fma_f32 v[6:7], v[230:231], s[38:39], v[188:189] op_sel:[0,0,1] op_sel_hi:[1,0,0] neg_lo:[0,0,1] neg_hi:[0,0,1]
	v_pk_fma_f32 v[236:237], v[156:157], s[2:3], v[182:183] op_sel:[0,0,1] op_sel_hi:[1,0,0]
	v_pk_fma_f32 v[238:239], v[156:157], s[2:3], v[182:183] op_sel:[0,0,1] op_sel_hi:[1,0,0] neg_lo:[0,0,1] neg_hi:[0,0,1]
	v_mov_b32_e32 v182, v236
	v_mov_b32_e32 v183, v239
	v_pk_add_f32 v[146:147], v[182:183], v[146:147]
	v_pk_mul_f32 v[182:183], v[148:149], s[18:19] op_sel_hi:[1,0]
	v_pk_mul_f32 v[24:25], v[222:223], s[24:25]
	v_pk_fma_f32 v[4:5], v[240:241], s[38:39], v[182:183] op_sel:[0,0,1] op_sel_hi:[1,0,0]
	v_pk_fma_f32 v[232:233], v[240:241], s[38:39], v[182:183] op_sel:[0,0,1] op_sel_hi:[1,0,0] neg_lo:[0,0,1] neg_hi:[0,0,1]
	v_mov_b32_e32 v182, v4
	v_mov_b32_e32 v183, v233
	v_pk_add_f32 v[146:147], v[182:183], v[146:147]
	v_pk_mul_f32 v[182:183], v[150:151], s[40:41] op_sel_hi:[1,0]
	v_mov_b32_e32 v3, v5
	v_pk_fma_f32 v[4:5], v[154:155], s[50:51], v[182:183] op_sel:[0,0,1] op_sel_hi:[1,0,0]
	v_pk_fma_f32 v[192:193], v[154:155], s[50:51], v[182:183] op_sel:[0,0,1] op_sel_hi:[1,0,0] neg_lo:[0,0,1] neg_hi:[0,0,1]
	v_mov_b32_e32 v182, v4
	v_mov_b32_e32 v183, v193
	v_pk_add_f32 v[146:147], v[182:183], v[146:147]
	v_pk_mul_f32 v[182:183], v[144:145], s[36:37] op_sel_hi:[1,0]
	v_mov_b32_e32 v1, v5
	;; [unrolled: 7-line block ×3, first 2 shown]
	v_pk_fma_f32 v[66:67], v[224:225], s[48:49], v[182:183] op_sel:[0,0,1] op_sel_hi:[1,0,0]
	v_pk_fma_f32 v[242:243], v[224:225], s[48:49], v[182:183] op_sel:[0,0,1] op_sel_hi:[1,0,0] neg_lo:[0,0,1] neg_hi:[0,0,1]
	v_mov_b32_e32 v182, v66
	v_mov_b32_e32 v183, v243
	v_pk_fma_f32 v[4:5], v[230:231], s[38:39], v[188:189] op_sel:[0,0,1] op_sel_hi:[1,0,0]
	v_pk_add_f32 v[182:183], v[140:141], v[182:183]
	v_mov_b32_e32 v188, v4
	v_mov_b32_e32 v189, v7
	v_pk_add_f32 v[182:183], v[188:189], v[182:183]
	v_pk_mul_f32 v[188:189], v[158:159], s[14:15] op_sel_hi:[1,0]
	v_accvgpr_write_b32 a95, v25
	v_pk_fma_f32 v[8:9], v[156:157], s[44:45], v[188:189] op_sel:[0,0,1] op_sel_hi:[1,0,0]
	v_pk_fma_f32 v[10:11], v[156:157], s[44:45], v[188:189] op_sel:[0,0,1] op_sel_hi:[1,0,0] neg_lo:[0,0,1] neg_hi:[0,0,1]
	v_mov_b32_e32 v188, v8
	v_mov_b32_e32 v189, v11
	v_pk_add_f32 v[182:183], v[188:189], v[182:183]
	v_pk_mul_f32 v[188:189], v[148:149], s[40:41] op_sel_hi:[1,0]
	v_accvgpr_write_b32 a94, v24
	v_pk_fma_f32 v[12:13], v[240:241], s[50:51], v[188:189] op_sel:[0,0,1] op_sel_hi:[1,0,0]
	v_pk_fma_f32 v[14:15], v[240:241], s[50:51], v[188:189] op_sel:[0,0,1] op_sel_hi:[1,0,0] neg_lo:[0,0,1] neg_hi:[0,0,1]
	v_mov_b32_e32 v188, v12
	v_mov_b32_e32 v189, v15
	v_pk_add_f32 v[182:183], v[188:189], v[182:183]
	v_pk_mul_f32 v[188:189], v[150:151], s[22:23] op_sel_hi:[1,0]
	v_pk_fma_f32 v[248:249], v[200:201], s[2:3], v[24:25]
	v_pk_fma_f32 v[16:17], v[154:155], s[2:3], v[188:189] op_sel:[0,0,1] op_sel_hi:[1,0,0]
	v_pk_fma_f32 v[18:19], v[154:155], s[2:3], v[188:189] op_sel:[0,0,1] op_sel_hi:[1,0,0] neg_lo:[0,0,1] neg_hi:[0,0,1]
	v_mov_b32_e32 v188, v16
	v_mov_b32_e32 v189, v19
	v_pk_add_f32 v[182:183], v[188:189], v[182:183]
	v_pk_mul_f32 v[188:189], v[144:145], s[8:9] op_sel_hi:[1,0]
	s_mov_b32 s24, s15
	v_pk_fma_f32 v[20:21], v[152:153], s[46:47], v[188:189] op_sel:[0,0,1] op_sel_hi:[1,0,0]
	v_pk_fma_f32 v[22:23], v[152:153], s[46:47], v[188:189] op_sel:[0,0,1] op_sel_hi:[1,0,0] neg_lo:[0,0,1] neg_hi:[0,0,1]
	v_mov_b32_e32 v188, v20
	v_mov_b32_e32 v189, v23
	v_pk_add_f32 v[182:183], v[188:189], v[182:183]
	ds_write2_b64 v65, v[146:147], v[182:183] offset0:4 offset1:5
	v_pk_fma_f32 v[146:147], v[200:201], s[2:3], v[24:25] neg_lo:[0,0,1] neg_hi:[0,0,1]
	s_mov_b32 s25, s14
	v_pk_mul_f32 v[24:25], v[220:221], s[14:15]
	v_mov_b32_e32 v147, v249
	v_pk_fma_f32 v[182:183], v[202:203], s[24:25], v[24:25] neg_lo:[0,0,1] neg_hi:[0,0,1]
	v_accvgpr_write_b32 a97, v25
	v_pk_fma_f32 v[244:245], v[202:203], s[24:25], v[24:25]
	v_pk_add_f32 v[146:147], v[30:31], v[146:147]
	v_accvgpr_write_b32 a96, v24
	v_mov_b32_e32 v183, v245
	s_mov_b32 s30, s19
	s_mov_b32 s31, s18
	v_pk_mul_f32 v[24:25], v[218:219], s[18:19]
	v_pk_add_f32 v[146:147], v[182:183], v[146:147]
	v_pk_fma_f32 v[182:183], v[204:205], s[30:31], v[24:25] neg_lo:[0,0,1] neg_hi:[0,0,1]
	v_accvgpr_write_b32 a99, v25
	v_pk_fma_f32 v[188:189], v[204:205], s[30:31], v[24:25]
	v_accvgpr_write_b32 a98, v24
	v_mov_b32_e32 v183, v189
	s_mov_b32 s26, s9
	s_mov_b32 s27, s8
	v_pk_mul_f32 v[24:25], v[216:217], s[8:9]
	v_pk_add_f32 v[146:147], v[182:183], v[146:147]
	v_pk_fma_f32 v[198:199], v[206:207], s[26:27], v[24:25] neg_lo:[0,0,1] neg_hi:[0,0,1]
	v_accvgpr_write_b32 a101, v25
	v_pk_fma_f32 v[182:183], v[206:207], s[26:27], v[24:25]
	v_accvgpr_write_b32 a100, v24
	v_mov_b32_e32 v199, v183
	s_mov_b32 s28, s13
	s_mov_b32 s29, s12
	v_pk_mul_f32 v[24:25], v[214:215], s[12:13]
	v_pk_add_f32 v[146:147], v[198:199], v[146:147]
	v_pk_fma_f32 v[252:253], v[208:209], s[28:29], v[24:25] neg_lo:[0,0,1] neg_hi:[0,0,1]
	v_pk_fma_f32 v[198:199], v[208:209], s[28:29], v[24:25]
	v_pk_mul_f32 v[178:179], v[178:179], s[16:17] op_sel_hi:[1,0]
	v_mov_b32_e32 v253, v199
	v_accvgpr_write_b32 a103, v25
	v_pk_add_f32 v[146:147], v[252:253], v[146:147]
	v_pk_fma_f32 v[252:253], v[224:225], s[50:51], v[178:179] op_sel:[0,0,1] op_sel_hi:[1,0,0]
	v_pk_fma_f32 v[178:179], v[224:225], s[50:51], v[178:179] op_sel:[0,0,1] op_sel_hi:[1,0,0] neg_lo:[0,0,1] neg_hi:[0,0,1]
	v_pk_mul_f32 v[162:163], v[162:163], s[22:23] op_sel_hi:[1,0]
	v_accvgpr_write_b32 a102, v24
	v_pk_fma_f32 v[24:25], v[230:231], s[2:3], v[162:163] op_sel:[0,0,1] op_sel_hi:[1,0,0]
	v_pk_fma_f32 v[162:163], v[230:231], s[2:3], v[162:163] op_sel:[0,0,1] op_sel_hi:[1,0,0] neg_lo:[0,0,1] neg_hi:[0,0,1]
	v_mov_b32_e32 v230, v252
	v_mov_b32_e32 v231, v179
	v_pk_add_f32 v[230:231], v[140:141], v[230:231]
	v_mov_b32_e32 v224, v24
	v_mov_b32_e32 v225, v163
	v_pk_mul_f32 v[158:159], v[158:159], s[12:13] op_sel_hi:[1,0]
	v_pk_add_f32 v[26:27], v[224:225], v[230:231]
	v_pk_fma_f32 v[224:225], v[156:157], s[48:49], v[158:159] op_sel:[0,0,1] op_sel_hi:[1,0,0]
	v_pk_fma_f32 v[156:157], v[156:157], s[48:49], v[158:159] op_sel:[0,0,1] op_sel_hi:[1,0,0] neg_lo:[0,0,1] neg_hi:[0,0,1]
	v_mov_b32_e32 v158, v224
	v_mov_b32_e32 v159, v157
	v_pk_mul_f32 v[148:149], v[148:149], s[36:37] op_sel_hi:[1,0]
	v_pk_add_f32 v[26:27], v[158:159], v[26:27]
	v_pk_fma_f32 v[158:159], v[240:241], s[44:45], v[148:149] op_sel:[0,0,1] op_sel_hi:[1,0,0]
	v_pk_fma_f32 v[148:149], v[240:241], s[44:45], v[148:149] op_sel:[0,0,1] op_sel_hi:[1,0,0] neg_lo:[0,0,1] neg_hi:[0,0,1]
	v_mov_b32_e32 v179, v253
	v_mov_b32_e32 v243, v67
	;; [unrolled: 1-line block ×4, first 2 shown]
	v_pk_mul_f32 v[150:151], v[150:151], s[8:9] op_sel_hi:[1,0]
	v_mov_b32_e32 v163, v25
	v_pk_add_f32 v[24:25], v[140:141], v[178:179]
	v_mov_b32_e32 v7, v5
	v_pk_add_f32 v[4:5], v[140:141], v[242:243]
	v_pk_add_f32 v[26:27], v[230:231], v[26:27]
	v_pk_fma_f32 v[230:231], v[154:155], s[46:47], v[150:151] op_sel:[0,0,1] op_sel_hi:[1,0,0]
	v_pk_fma_f32 v[150:151], v[154:155], s[46:47], v[150:151] op_sel:[0,0,1] op_sel_hi:[1,0,0] neg_lo:[0,0,1] neg_hi:[0,0,1]
	v_pk_add_f32 v[24:25], v[162:163], v[24:25]
	v_mov_b32_e32 v157, v225
	v_pk_add_f32 v[4:5], v[6:7], v[4:5]
	v_mov_b32_e32 v11, v9
	v_accvgpr_read_b32 v6, a42
	v_mov_b32_e32 v154, v230
	v_mov_b32_e32 v155, v151
	v_pk_mul_f32 v[144:145], v[144:145], s[20:21] op_sel_hi:[1,0]
	v_pk_add_f32 v[24:25], v[156:157], v[24:25]
	v_mov_b32_e32 v149, v159
	v_accvgpr_read_b32 v7, a43
	v_accvgpr_read_b32 v8, a44
	;; [unrolled: 1-line block ×3, first 2 shown]
	v_pk_add_f32 v[26:27], v[154:155], v[26:27]
	v_pk_fma_f32 v[154:155], v[152:153], s[38:39], v[144:145] op_sel:[0,0,1] op_sel_hi:[1,0,0]
	v_pk_fma_f32 v[152:153], v[152:153], s[38:39], v[144:145] op_sel:[0,0,1] op_sel_hi:[1,0,0] neg_lo:[0,0,1] neg_hi:[0,0,1]
	v_pk_add_f32 v[24:25], v[148:149], v[24:25]
	v_mov_b32_e32 v151, v231
	v_mov_b32_e32 v158, v6
	;; [unrolled: 1-line block ×7, first 2 shown]
	v_accvgpr_write_b32 a45, v9
	v_mov_b32_e32 v233, v3
	v_mov_b32_e32 v3, v143
	;; [unrolled: 1-line block ×4, first 2 shown]
	v_pk_add_f32 v[24:25], v[150:151], v[24:25]
	v_mov_b32_e32 v153, v155
	v_accvgpr_write_b32 a44, v8
	v_accvgpr_write_b32 a43, v7
	;; [unrolled: 1-line block ×3, first 2 shown]
	v_accvgpr_read_b32 v6, a62
	v_mov_b32_e32 v193, v1
	v_pk_add_f32 v[2:3], v[140:141], v[2:3]
	v_mov_b32_e32 v1, v181
	v_mov_b32_e32 v181, v167
	v_pk_add_f32 v[26:27], v[144:145], v[26:27]
	v_pk_add_f32 v[24:25], v[152:153], v[24:25]
	v_pk_mul_f32 v[178:179], v[212:213], s[16:17]
	s_mov_b32 s38, s17
	s_mov_b32 s39, s16
	v_accvgpr_read_b32 v7, a63
	v_accvgpr_read_b32 v8, a64
	;; [unrolled: 1-line block ×3, first 2 shown]
	v_mov_b32_e32 v185, v165
	v_pk_add_f32 v[0:1], v[0:1], v[2:3]
	v_mov_b32_e32 v165, v187
	v_pk_add_f32 v[2:3], v[140:141], v[180:181]
	v_mov_b32_e32 v187, v171
	ds_write2_b64 v65, v[26:27], v[24:25] offset0:6 offset1:7
	v_pk_fma_f32 v[24:25], v[210:211], s[38:39], v[178:179] neg_lo:[0,0,1] neg_hi:[0,0,1]
	v_pk_fma_f32 v[252:253], v[210:211], s[38:39], v[178:179]
	v_mov_b32_e32 v150, v6
	v_mov_b32_e32 v151, v6
	;; [unrolled: 1-line block ×7, first 2 shown]
	v_accvgpr_write_b32 a65, v9
	v_mov_b32_e32 v169, v191
	v_pk_add_f32 v[2:3], v[186:187], v[2:3]
	v_mov_b32_e32 v191, v177
	v_mov_b32_e32 v25, v253
	v_pk_add_f32 v[4:5], v[10:11], v[4:5]
	v_accvgpr_write_b32 a64, v8
	v_accvgpr_write_b32 a63, v7
	;; [unrolled: 1-line block ×3, first 2 shown]
	v_accvgpr_read_b32 v8, a54
	v_pk_add_f32 v[0:1], v[164:165], v[0:1]
	v_mov_b32_e32 v173, v195
	v_pk_add_f32 v[2:3], v[190:191], v[2:3]
	v_mov_b32_e32 v195, v247
	;; [unrolled: 2-line block ×3, first 2 shown]
	v_accvgpr_read_b32 v9, a55
	v_accvgpr_read_b32 v10, a56
	;; [unrolled: 1-line block ×3, first 2 shown]
	v_pk_add_f32 v[6:7], v[140:141], v[228:229]
	v_pk_add_f32 v[0:1], v[168:169], v[0:1]
	v_mov_b32_e32 v175, v197
	v_pk_add_f32 v[2:3], v[194:195], v[2:3]
	v_mov_b32_e32 v197, v251
	v_accvgpr_write_b32 a87, v25
	v_mov_b32_e32 v226, v8
	v_mov_b32_e32 v227, v8
	v_mov_b32_e32 v8, v9
	v_pk_add_f32 v[6:7], v[234:235], v[6:7]
	v_mov_b32_e32 v234, v10
	v_mov_b32_e32 v235, v10
	;; [unrolled: 1-line block ×3, first 2 shown]
	v_accvgpr_write_b32 a57, v11
	v_pk_add_f32 v[0:1], v[172:173], v[0:1]
	v_pk_add_f32 v[2:3], v[196:197], v[2:3]
	v_mov_b32_e32 v143, v255
	v_accvgpr_write_b32 a86, v24
	v_accvgpr_read_b32 v24, a58
	v_accvgpr_write_b32 a56, v10
	v_accvgpr_write_b32 a55, v9
	;; [unrolled: 1-line block ×3, first 2 shown]
	v_accvgpr_read_b32 v8, a46
	v_pk_add_f32 v[0:1], v[174:175], v[0:1]
	v_pk_add_f32 v[2:3], v[142:143], v[2:3]
	v_mov_b32_e32 v247, v29
	v_accvgpr_read_b32 v25, a59
	v_accvgpr_read_b32 v26, a60
	;; [unrolled: 1-line block ×3, first 2 shown]
	v_mov_b32_e32 v239, v237
	v_accvgpr_read_b32 v9, a47
	v_accvgpr_read_b32 v10, a48
	;; [unrolled: 1-line block ×3, first 2 shown]
	ds_write2_b64 v65, v[0:1], v[2:3] offset0:10 offset1:11
	v_pk_add_f32 v[0:1], v[140:141], v[246:247]
	v_accvgpr_read_b32 v251, a83
	v_mov_b32_e32 v240, v24
	v_mov_b32_e32 v241, v24
	v_mov_b32_e32 v24, v25
	v_mov_b32_e32 v66, v26
	v_mov_b32_e32 v67, v26
	v_mov_b32_e32 v26, v27
	v_accvgpr_write_b32 a61, v27
	v_mov_b32_e32 v228, v8
	v_mov_b32_e32 v229, v8
	;; [unrolled: 1-line block ×3, first 2 shown]
	v_pk_add_f32 v[6:7], v[238:239], v[6:7]
	v_mov_b32_e32 v238, v10
	v_mov_b32_e32 v239, v10
	;; [unrolled: 1-line block ×3, first 2 shown]
	v_accvgpr_write_b32 a49, v11
	v_pk_add_f32 v[0:1], v[250:251], v[0:1]
	v_accvgpr_read_b32 v255, a85
	v_accvgpr_write_b32 a60, v26
	v_accvgpr_write_b32 a59, v25
	;; [unrolled: 1-line block ×3, first 2 shown]
	v_accvgpr_read_b32 v24, a50
	v_mov_b32_e32 v15, v13
	v_accvgpr_write_b32 a48, v10
	v_accvgpr_write_b32 a47, v9
	;; [unrolled: 1-line block ×3, first 2 shown]
	v_accvgpr_read_b32 v8, a38
	v_pk_add_f32 v[0:1], v[254:255], v[0:1]
	v_accvgpr_read_b32 v167, a89
	v_accvgpr_read_b32 v25, a51
	;; [unrolled: 1-line block ×4, first 2 shown]
	v_pk_add_f32 v[4:5], v[14:15], v[4:5]
	v_mov_b32_e32 v19, v17
	v_accvgpr_read_b32 v9, a39
	v_accvgpr_read_b32 v10, a40
	;; [unrolled: 1-line block ×3, first 2 shown]
	v_pk_add_f32 v[6:7], v[232:233], v[6:7]
	v_pk_add_f32 v[0:1], v[166:167], v[0:1]
	v_accvgpr_read_b32 v171, a91
	v_mov_b32_e32 v148, v24
	v_mov_b32_e32 v149, v24
	;; [unrolled: 1-line block ×6, first 2 shown]
	v_accvgpr_write_b32 a53, v27
	v_pk_add_f32 v[4:5], v[18:19], v[4:5]
	v_mov_b32_e32 v23, v21
	v_mov_b32_e32 v236, v8
	;; [unrolled: 1-line block ×7, first 2 shown]
	v_accvgpr_write_b32 a41, v11
	v_pk_add_f32 v[6:7], v[192:193], v[6:7]
	v_pk_add_f32 v[0:1], v[170:171], v[0:1]
	v_accvgpr_read_b32 v177, a93
	v_mov_b32_e32 v144, v32
	v_mov_b32_e32 v145, v32
	;; [unrolled: 1-line block ×6, first 2 shown]
	v_accvgpr_write_b32 a52, v26
	v_accvgpr_write_b32 a51, v25
	;; [unrolled: 1-line block ×3, first 2 shown]
	v_mov_b32_e32 v146, v40
	v_mov_b32_e32 v147, v40
	;; [unrolled: 1-line block ×12, first 2 shown]
	v_pk_add_f32 v[4:5], v[22:23], v[4:5]
	v_accvgpr_write_b32 a40, v10
	v_accvgpr_write_b32 a39, v9
	;; [unrolled: 1-line block ×3, first 2 shown]
	v_pk_add_f32 v[6:7], v[184:185], v[6:7]
	v_pk_add_f32 v[0:1], v[176:177], v[0:1]
	ds_write2_b64 v65, v[4:5], v[6:7] offset0:8 offset1:9
	ds_write_b64 v65, v[0:1] offset:96
	s_and_saveexec_b64 s[44:45], vcc
	s_cbranch_execz .LBB0_17
; %bb.16:
	v_accvgpr_read_b32 v14, a68
	v_lshl_add_u32 v65, v14, 3, v28
	v_accvgpr_read_b32 v14, a94
	v_pk_mul_f32 v[0:1], v[200:201], s[2:3]
	v_accvgpr_read_b32 v15, a95
	v_pk_add_f32 v[0:1], v[14:15], v[0:1] neg_lo:[0,1] neg_hi:[0,1]
	v_accvgpr_read_b32 v14, a96
	v_pk_mul_f32 v[2:3], v[202:203], s[24:25]
	v_accvgpr_read_b32 v15, a97
	v_pk_add_f32 v[2:3], v[14:15], v[2:3] neg_lo:[0,1] neg_hi:[0,1]
	v_pk_add_f32 v[12:13], v[120:121], v[30:31]
	v_mov_b32_e32 v245, v3
	v_accvgpr_read_b32 v2, a98
	v_pk_mul_f32 v[4:5], v[204:205], s[30:31]
	v_pk_add_f32 v[12:13], v[122:123], v[12:13]
	v_accvgpr_read_b32 v3, a99
	v_pk_add_f32 v[12:13], v[124:125], v[12:13]
	v_pk_add_f32 v[2:3], v[2:3], v[4:5] neg_lo:[0,1] neg_hi:[0,1]
	v_pk_add_f32 v[12:13], v[126:127], v[12:13]
	v_mov_b32_e32 v189, v3
	v_accvgpr_read_b32 v2, a100
	v_pk_mul_f32 v[6:7], v[206:207], s[26:27]
	v_pk_add_f32 v[12:13], v[128:129], v[12:13]
	v_accvgpr_read_b32 v3, a101
	v_pk_add_f32 v[12:13], v[130:131], v[12:13]
	v_mov_b32_e32 v249, v1
	v_pk_add_f32 v[2:3], v[2:3], v[6:7] neg_lo:[0,1] neg_hi:[0,1]
	v_pk_add_f32 v[12:13], v[132:133], v[12:13]
	v_pk_add_f32 v[0:1], v[30:31], v[248:249]
	v_mov_b32_e32 v183, v3
	v_accvgpr_read_b32 v2, a102
	v_pk_mul_f32 v[8:9], v[208:209], s[28:29]
	v_pk_add_f32 v[12:13], v[134:135], v[12:13]
	v_pk_add_f32 v[0:1], v[244:245], v[0:1]
	v_accvgpr_read_b32 v3, a103
	v_pk_mul_f32 v[10:11], v[210:211], s[38:39]
	v_pk_add_f32 v[12:13], v[136:137], v[12:13]
	v_pk_add_f32 v[0:1], v[188:189], v[0:1]
	v_pk_add_f32 v[2:3], v[2:3], v[8:9] neg_lo:[0,1] neg_hi:[0,1]
	v_pk_add_f32 v[12:13], v[138:139], v[12:13]
	v_pk_add_f32 v[0:1], v[182:183], v[0:1]
	v_mov_b32_e32 v199, v3
	v_pk_add_f32 v[2:3], v[178:179], v[10:11] neg_lo:[0,1] neg_hi:[0,1]
	v_pk_add_f32 v[12:13], v[116:117], v[12:13]
	v_pk_add_f32 v[0:1], v[198:199], v[0:1]
	v_mov_b32_e32 v253, v3
	v_pk_add_f32 v[12:13], v[118:119], v[12:13]
	v_pk_add_f32 v[0:1], v[252:253], v[0:1]
	v_pk_mul_f32 v[2:3], v[222:223], s[14:15]
	ds_write2_b64 v65, v[12:13], v[0:1] offset1:1
	v_pk_fma_f32 v[0:1], v[200:201], s[24:25], v[2:3]
	v_pk_fma_f32 v[4:5], v[200:201], s[24:25], v[2:3] neg_lo:[1,0,0] neg_hi:[1,0,0]
	v_pk_mul_f32 v[118:119], v[220:221], s[8:9]
	v_mov_b32_e32 v4, v0
	v_pk_fma_f32 v[116:117], v[202:203], s[26:27], v[118:119]
	v_pk_fma_f32 v[6:7], v[202:203], s[26:27], v[118:119] neg_lo:[1,0,0] neg_hi:[1,0,0]
	v_pk_add_f32 v[4:5], v[30:31], v[4:5]
	v_mov_b32_e32 v6, v116
	v_pk_mul_f32 v[122:123], v[218:219], s[16:17]
	v_pk_add_f32 v[4:5], v[6:7], v[4:5]
	v_pk_fma_f32 v[120:121], v[204:205], s[38:39], v[122:123]
	v_pk_fma_f32 v[6:7], v[204:205], s[38:39], v[122:123] neg_lo:[1,0,0] neg_hi:[1,0,0]
	s_mov_b32 s35, s13
	v_mov_b32_e32 v6, v120
	s_mov_b32 s46, s13
	s_mov_b32 s47, s34
	v_pk_mul_f32 v[126:127], v[216:217], s[34:35]
	v_pk_add_f32 v[4:5], v[6:7], v[4:5]
	v_pk_fma_f32 v[124:125], v[206:207], s[46:47], v[126:127]
	v_pk_fma_f32 v[6:7], v[206:207], s[46:47], v[126:127] neg_lo:[1,0,0] neg_hi:[1,0,0]
	s_mov_b32 s21, s19
	v_mov_b32_e32 v6, v124
	s_mov_b32 s48, s19
	s_mov_b32 s49, s20
	v_pk_mul_f32 v[130:131], v[214:215], s[20:21]
	v_pk_add_f32 v[4:5], v[6:7], v[4:5]
	v_pk_fma_f32 v[128:129], v[208:209], s[48:49], v[130:131]
	v_pk_fma_f32 v[6:7], v[208:209], s[48:49], v[130:131] neg_lo:[1,0,0] neg_hi:[1,0,0]
	s_mov_b32 s23, s2
	v_mov_b32_e32 v6, v128
	s_mov_b32 s3, s22
	v_pk_mul_f32 v[134:135], v[212:213], s[22:23]
	v_pk_add_f32 v[4:5], v[6:7], v[4:5]
	v_pk_fma_f32 v[132:133], v[210:211], s[2:3], v[134:135]
	v_pk_fma_f32 v[6:7], v[210:211], s[2:3], v[134:135] neg_lo:[1,0,0] neg_hi:[1,0,0]
	v_pk_mul_f32 v[138:139], v[222:223], s[18:19]
	v_mov_b32_e32 v6, v132
	v_pk_add_f32 v[4:5], v[6:7], v[4:5]
	v_pk_fma_f32 v[136:137], v[200:201], s[30:31], v[138:139]
	v_pk_fma_f32 v[6:7], v[200:201], s[30:31], v[138:139] neg_lo:[1,0,0] neg_hi:[1,0,0]
	v_pk_mul_f32 v[142:143], v[220:221], s[16:17]
	v_mov_b32_e32 v6, v136
	v_pk_fma_f32 v[140:141], v[202:203], s[38:39], v[142:143]
	v_pk_fma_f32 v[8:9], v[202:203], s[38:39], v[142:143] neg_lo:[1,0,0] neg_hi:[1,0,0]
	v_pk_add_f32 v[6:7], v[30:31], v[6:7]
	v_mov_b32_e32 v8, v140
	s_mov_b32 s43, s9
	v_pk_add_f32 v[6:7], v[8:9], v[6:7]
	s_mov_b32 s50, s9
	s_mov_b32 s51, s42
	v_pk_mul_f32 v[8:9], v[218:219], s[42:43]
	v_pk_mul_f32 v[26:27], v[220:221], s[34:35]
	v_pk_fma_f32 v[10:11], v[204:205], s[50:51], v[8:9]
	v_pk_fma_f32 v[12:13], v[204:205], s[50:51], v[8:9] neg_lo:[1,0,0] neg_hi:[1,0,0]
	v_pk_fma_f32 v[164:165], v[202:203], s[46:47], v[26:27]
	v_mov_b32_e32 v12, v10
	v_pk_add_f32 v[6:7], v[12:13], v[6:7]
	v_pk_mul_f32 v[12:13], v[216:217], s[22:23]
	v_pk_fma_f32 v[166:167], v[202:203], s[46:47], v[26:27] neg_lo:[1,0,0] neg_hi:[1,0,0]
	v_pk_fma_f32 v[14:15], v[206:207], s[2:3], v[12:13]
	v_pk_fma_f32 v[16:17], v[206:207], s[2:3], v[12:13] neg_lo:[1,0,0] neg_hi:[1,0,0]
	v_mov_b32_e32 v166, v164
	v_mov_b32_e32 v16, v14
	v_pk_add_f32 v[6:7], v[16:17], v[6:7]
	v_pk_mul_f32 v[16:17], v[214:215], s[14:15]
	s_mov_b32 s41, s17
	v_pk_fma_f32 v[18:19], v[208:209], s[24:25], v[16:17]
	v_pk_fma_f32 v[20:21], v[208:209], s[24:25], v[16:17] neg_lo:[1,0,0] neg_hi:[1,0,0]
	s_mov_b32 s37, s15
	v_mov_b32_e32 v20, v18
	v_pk_add_f32 v[6:7], v[20:21], v[6:7]
	v_pk_mul_f32 v[20:21], v[212:213], s[12:13]
	s_mov_b32 s34, s15
	v_pk_fma_f32 v[22:23], v[210:211], s[28:29], v[20:21]
	v_pk_fma_f32 v[24:25], v[210:211], s[28:29], v[20:21] neg_lo:[1,0,0] neg_hi:[1,0,0]
	s_mov_b32 s35, s36
	v_mov_b32_e32 v24, v22
	v_pk_add_f32 v[6:7], v[24:25], v[6:7]
	ds_write2_b64 v65, v[4:5], v[6:7] offset0:2 offset1:3
	v_pk_mul_f32 v[4:5], v[222:223], s[8:9]
	v_pk_mul_f32 v[188:189], v[220:221], s[20:21]
	v_pk_fma_f32 v[6:7], v[200:201], s[26:27], v[4:5]
	v_pk_fma_f32 v[24:25], v[200:201], s[26:27], v[4:5] neg_lo:[1,0,0] neg_hi:[1,0,0]
	v_pk_fma_f32 v[190:191], v[202:203], s[48:49], v[188:189]
	v_mov_b32_e32 v24, v6
	v_pk_add_f32 v[24:25], v[30:31], v[24:25]
	v_pk_fma_f32 v[192:193], v[202:203], s[48:49], v[188:189] neg_lo:[1,0,0] neg_hi:[1,0,0]
	v_pk_add_f32 v[24:25], v[166:167], v[24:25]
	v_pk_mul_f32 v[166:167], v[218:219], s[22:23]
	v_mov_b32_e32 v192, v190
	v_pk_fma_f32 v[168:169], v[204:205], s[2:3], v[166:167]
	v_pk_fma_f32 v[170:171], v[204:205], s[2:3], v[166:167] neg_lo:[1,0,0] neg_hi:[1,0,0]
	v_pk_mul_f32 v[220:221], v[220:221], s[22:23]
	v_mov_b32_e32 v170, v168
	v_pk_add_f32 v[24:25], v[170:171], v[24:25]
	v_pk_mul_f32 v[170:171], v[216:217], s[18:19]
	s_mov_b32 s18, s17
	v_pk_fma_f32 v[172:173], v[206:207], s[30:31], v[170:171]
	v_pk_fma_f32 v[174:175], v[206:207], s[30:31], v[170:171] neg_lo:[1,0,0] neg_hi:[1,0,0]
	s_mov_b32 s19, s40
	v_mov_b32_e32 v174, v172
	v_pk_add_f32 v[24:25], v[174:175], v[24:25]
	v_pk_mul_f32 v[174:175], v[214:215], s[40:41]
	v_pk_fma_f32 v[252:253], v[202:203], s[2:3], v[220:221] neg_lo:[1,0,0] neg_hi:[1,0,0]
	v_pk_fma_f32 v[176:177], v[208:209], s[18:19], v[174:175]
	v_pk_fma_f32 v[178:179], v[208:209], s[18:19], v[174:175] neg_lo:[1,0,0] neg_hi:[1,0,0]
	v_accvgpr_write_b32 a89, v1
	v_mov_b32_e32 v178, v176
	v_pk_add_f32 v[24:25], v[178:179], v[24:25]
	v_pk_mul_f32 v[178:179], v[212:213], s[36:37]
	v_accvgpr_write_b32 a85, v35
	v_pk_fma_f32 v[180:181], v[210:211], s[34:35], v[178:179]
	v_pk_fma_f32 v[182:183], v[210:211], s[34:35], v[178:179] neg_lo:[1,0,0] neg_hi:[1,0,0]
	v_accvgpr_write_b32 a84, v34
	v_mov_b32_e32 v182, v180
	v_pk_add_f32 v[24:25], v[182:183], v[24:25]
	v_pk_mul_f32 v[182:183], v[222:223], s[12:13]
	v_accvgpr_write_b32 a83, v33
	v_pk_fma_f32 v[184:185], v[200:201], s[28:29], v[182:183]
	v_pk_fma_f32 v[186:187], v[200:201], s[28:29], v[182:183] neg_lo:[1,0,0] neg_hi:[1,0,0]
	v_accvgpr_write_b32 a82, v32
	v_mov_b32_e32 v186, v184
	v_pk_add_f32 v[186:187], v[30:31], v[186:187]
	v_pk_fma_f32 v[4:5], v[200:201], s[26:27], v[4:5] neg_lo:[0,0,1] neg_hi:[0,0,1]
	v_pk_add_f32 v[186:187], v[192:193], v[186:187]
	v_pk_mul_f32 v[192:193], v[218:219], s[14:15]
	v_pk_mul_f32 v[218:219], v[218:219], s[12:13]
	v_pk_fma_f32 v[194:195], v[204:205], s[24:25], v[192:193]
	v_pk_fma_f32 v[196:197], v[204:205], s[24:25], v[192:193] neg_lo:[1,0,0] neg_hi:[1,0,0]
	v_pk_fma_f32 v[254:255], v[204:205], s[28:29], v[218:219] neg_lo:[1,0,0] neg_hi:[1,0,0]
	v_mov_b32_e32 v196, v194
	v_pk_add_f32 v[186:187], v[196:197], v[186:187]
	v_pk_mul_f32 v[196:197], v[216:217], s[40:41]
	v_pk_mul_f32 v[216:217], v[216:217], s[36:37]
	v_pk_fma_f32 v[198:199], v[206:207], s[18:19], v[196:197]
	v_pk_fma_f32 v[242:243], v[206:207], s[18:19], v[196:197] neg_lo:[1,0,0] neg_hi:[1,0,0]
	v_pk_fma_f32 v[0:1], v[206:207], s[34:35], v[216:217]
	v_mov_b32_e32 v242, v198
	v_pk_add_f32 v[186:187], v[242:243], v[186:187]
	v_pk_mul_f32 v[242:243], v[214:215], s[22:23]
	v_pk_mul_f32 v[214:215], v[214:215], s[8:9]
	v_pk_fma_f32 v[244:245], v[208:209], s[2:3], v[242:243]
	v_pk_fma_f32 v[246:247], v[208:209], s[2:3], v[242:243] neg_lo:[1,0,0] neg_hi:[1,0,0]
	v_pk_fma_f32 v[28:29], v[208:209], s[26:27], v[214:215]
	v_mov_b32_e32 v246, v244
	v_pk_add_f32 v[186:187], v[246:247], v[186:187]
	v_pk_mul_f32 v[246:247], v[212:213], s[8:9]
	v_pk_mul_f32 v[212:213], v[212:213], s[20:21]
	v_pk_fma_f32 v[248:249], v[210:211], s[26:27], v[246:247]
	v_pk_fma_f32 v[250:251], v[210:211], s[26:27], v[246:247] neg_lo:[1,0,0] neg_hi:[1,0,0]
	v_mov_b32_e32 v5, v7
	v_mov_b32_e32 v250, v248
	v_pk_add_f32 v[186:187], v[250:251], v[186:187]
	ds_write2_b64 v65, v[24:25], v[186:187] offset0:4 offset1:5
	v_pk_mul_f32 v[24:25], v[222:223], s[16:17]
	v_pk_fma_f32 v[250:251], v[202:203], s[2:3], v[220:221]
	v_pk_fma_f32 v[186:187], v[200:201], s[38:39], v[24:25]
	v_pk_fma_f32 v[222:223], v[200:201], s[38:39], v[24:25] neg_lo:[1,0,0] neg_hi:[1,0,0]
	v_pk_fma_f32 v[24:25], v[200:201], s[38:39], v[24:25] neg_lo:[0,0,1] neg_hi:[0,0,1]
	v_mov_b32_e32 v222, v186
	v_mov_b32_e32 v25, v187
	v_pk_fma_f32 v[186:187], v[202:203], s[2:3], v[220:221] neg_lo:[0,0,1] neg_hi:[0,0,1]
	v_pk_add_f32 v[222:223], v[30:31], v[222:223]
	v_mov_b32_e32 v252, v250
	v_pk_add_f32 v[24:25], v[30:31], v[24:25]
	v_mov_b32_e32 v187, v251
	v_pk_add_f32 v[222:223], v[252:253], v[222:223]
	v_pk_fma_f32 v[252:253], v[204:205], s[28:29], v[218:219]
	v_pk_add_f32 v[24:25], v[186:187], v[24:25]
	v_pk_fma_f32 v[186:187], v[204:205], s[28:29], v[218:219] neg_lo:[0,0,1] neg_hi:[0,0,1]
	v_mov_b32_e32 v254, v252
	v_mov_b32_e32 v187, v253
	v_pk_add_f32 v[222:223], v[254:255], v[222:223]
	v_pk_fma_f32 v[254:255], v[206:207], s[34:35], v[216:217] neg_lo:[1,0,0] neg_hi:[1,0,0]
	v_pk_add_f32 v[24:25], v[186:187], v[24:25]
	v_pk_fma_f32 v[186:187], v[206:207], s[34:35], v[216:217] neg_lo:[0,0,1] neg_hi:[0,0,1]
	v_mov_b32_e32 v254, v0
	v_mov_b32_e32 v187, v1
	v_pk_add_f32 v[222:223], v[254:255], v[222:223]
	v_pk_fma_f32 v[254:255], v[208:209], s[26:27], v[214:215] neg_lo:[1,0,0] neg_hi:[1,0,0]
	v_pk_add_f32 v[0:1], v[186:187], v[24:25]
	v_pk_fma_f32 v[24:25], v[208:209], s[26:27], v[214:215] neg_lo:[0,0,1] neg_hi:[0,0,1]
	v_mov_b32_e32 v254, v28
	v_mov_b32_e32 v25, v29
	v_pk_add_f32 v[32:33], v[254:255], v[222:223]
	v_pk_fma_f32 v[222:223], v[210:211], s[48:49], v[212:213]
	v_pk_fma_f32 v[254:255], v[210:211], s[48:49], v[212:213] neg_lo:[1,0,0] neg_hi:[1,0,0]
	v_pk_add_f32 v[0:1], v[24:25], v[0:1]
	v_pk_fma_f32 v[24:25], v[210:211], s[48:49], v[212:213] neg_lo:[0,0,1] neg_hi:[0,0,1]
	v_mov_b32_e32 v254, v222
	v_mov_b32_e32 v25, v223
	v_pk_add_f32 v[32:33], v[254:255], v[32:33]
	v_pk_add_f32 v[0:1], v[24:25], v[0:1]
	ds_write2_b64 v65, v[32:33], v[0:1] offset0:6 offset1:7
	v_pk_fma_f32 v[0:1], v[200:201], s[28:29], v[182:183] neg_lo:[0,0,1] neg_hi:[0,0,1]
	v_pk_fma_f32 v[24:25], v[202:203], s[48:49], v[188:189] neg_lo:[0,0,1] neg_hi:[0,0,1]
	v_mov_b32_e32 v1, v185
	v_pk_fma_f32 v[6:7], v[202:203], s[46:47], v[26:27] neg_lo:[0,0,1] neg_hi:[0,0,1]
	v_pk_add_f32 v[0:1], v[30:31], v[0:1]
	v_mov_b32_e32 v25, v191
	v_pk_add_f32 v[4:5], v[30:31], v[4:5]
	v_mov_b32_e32 v7, v165
	v_pk_add_f32 v[0:1], v[24:25], v[0:1]
	v_pk_fma_f32 v[24:25], v[204:205], s[24:25], v[192:193] neg_lo:[0,0,1] neg_hi:[0,0,1]
	v_pk_add_f32 v[4:5], v[6:7], v[4:5]
	v_pk_fma_f32 v[6:7], v[204:205], s[2:3], v[166:167] neg_lo:[0,0,1] neg_hi:[0,0,1]
	v_mov_b32_e32 v25, v195
	v_mov_b32_e32 v7, v169
	v_pk_add_f32 v[0:1], v[24:25], v[0:1]
	v_pk_fma_f32 v[24:25], v[206:207], s[18:19], v[196:197] neg_lo:[0,0,1] neg_hi:[0,0,1]
	v_pk_add_f32 v[4:5], v[6:7], v[4:5]
	v_pk_fma_f32 v[6:7], v[206:207], s[30:31], v[170:171] neg_lo:[0,0,1] neg_hi:[0,0,1]
	v_mov_b32_e32 v25, v199
	;; [unrolled: 6-line block ×4, first 2 shown]
	v_mov_b32_e32 v7, v181
	v_pk_add_f32 v[0:1], v[24:25], v[0:1]
	v_pk_add_f32 v[4:5], v[6:7], v[4:5]
	ds_write2_b64 v65, v[0:1], v[4:5] offset0:8 offset1:9
	v_pk_fma_f32 v[0:1], v[200:201], s[30:31], v[138:139] neg_lo:[0,0,1] neg_hi:[0,0,1]
	v_pk_fma_f32 v[4:5], v[202:203], s[38:39], v[142:143] neg_lo:[0,0,1] neg_hi:[0,0,1]
	v_mov_b32_e32 v1, v137
	v_pk_add_f32 v[0:1], v[30:31], v[0:1]
	v_mov_b32_e32 v5, v141
	v_pk_add_f32 v[0:1], v[4:5], v[0:1]
	v_pk_fma_f32 v[4:5], v[204:205], s[50:51], v[8:9] neg_lo:[0,0,1] neg_hi:[0,0,1]
	v_pk_fma_f32 v[2:3], v[200:201], s[24:25], v[2:3] neg_lo:[0,0,1] neg_hi:[0,0,1]
	v_mov_b32_e32 v5, v11
	v_pk_add_f32 v[0:1], v[4:5], v[0:1]
	v_pk_fma_f32 v[4:5], v[206:207], s[2:3], v[12:13] neg_lo:[0,0,1] neg_hi:[0,0,1]
	v_accvgpr_read_b32 v3, a89
	v_mov_b32_e32 v5, v15
	v_pk_add_f32 v[0:1], v[4:5], v[0:1]
	v_pk_fma_f32 v[4:5], v[208:209], s[24:25], v[16:17] neg_lo:[0,0,1] neg_hi:[0,0,1]
	v_pk_add_f32 v[2:3], v[30:31], v[2:3]
	v_mov_b32_e32 v5, v19
	v_pk_add_f32 v[0:1], v[4:5], v[0:1]
	v_pk_fma_f32 v[4:5], v[210:211], s[28:29], v[20:21] neg_lo:[0,0,1] neg_hi:[0,0,1]
	v_accvgpr_read_b32 v32, a82
	v_mov_b32_e32 v5, v23
	v_pk_add_f32 v[0:1], v[4:5], v[0:1]
	v_pk_fma_f32 v[4:5], v[202:203], s[26:27], v[118:119] neg_lo:[0,0,1] neg_hi:[0,0,1]
	v_accvgpr_read_b32 v33, a83
	;; [unrolled: 4-line block ×4, first 2 shown]
	v_mov_b32_e32 v5, v125
	v_pk_add_f32 v[2:3], v[4:5], v[2:3]
	v_pk_fma_f32 v[4:5], v[208:209], s[48:49], v[130:131] neg_lo:[0,0,1] neg_hi:[0,0,1]
	s_nop 0
	v_mov_b32_e32 v5, v129
	v_pk_add_f32 v[2:3], v[4:5], v[2:3]
	v_pk_fma_f32 v[4:5], v[210:211], s[2:3], v[134:135] neg_lo:[0,0,1] neg_hi:[0,0,1]
	s_nop 0
	v_mov_b32_e32 v5, v133
	v_pk_add_f32 v[2:3], v[4:5], v[2:3]
	ds_write2_b64 v65, v[0:1], v[2:3] offset0:10 offset1:11
	ds_write_b64 v65, a[86:87] offset:96
.LBB0_17:
	s_or_b64 exec, exec, s[44:45]
	v_mov_b32_e32 v124, v44
	v_mov_b32_e32 v125, v44
	v_add_u32_e32 v44, 0x800, v64
	s_waitcnt lgkmcnt(0)
	s_barrier
	ds_read2_b64 v[164:167], v44 offset0:56 offset1:95
	v_accvgpr_read_b32 v0, a70
	v_accvgpr_read_b32 v2, a72
	;; [unrolled: 1-line block ×3, first 2 shown]
	v_add_u32_e32 v65, 0x1000, v64
	v_accvgpr_read_b32 v1, a71
	v_mov_b32_e32 v208, v2
	v_mov_b32_e32 v209, v2
	;; [unrolled: 1-line block ×3, first 2 shown]
	ds_read2_b64 v[116:119], v64 offset0:156 offset1:195
	ds_read2_b64 v[168:171], v65 offset0:34 offset1:73
	;; [unrolled: 1-line block ×3, first 2 shown]
	ds_read_b64 v[4:5], v64 offset:7488
	v_mov_b32_e32 v210, v0
	v_mov_b32_e32 v211, v0
	;; [unrolled: 1-line block ×3, first 2 shown]
	v_mov_b64_e32 v[186:187], v[2:3]
	v_mov_b64_e32 v[184:185], v[0:1]
	s_waitcnt lgkmcnt(4)
	v_pk_mul_f32 v[2:3], v[32:33], v[166:167]
	s_waitcnt lgkmcnt(2)
	v_pk_mul_f32 v[6:7], v[34:35], v[168:169]
	v_pk_fma_f32 v[0:1], v[144:145], v[166:167], v[2:3] op_sel:[0,0,1] op_sel_hi:[1,1,0]
	v_pk_fma_f32 v[2:3], v[144:145], v[166:167], v[2:3] op_sel:[0,0,1] op_sel_hi:[1,1,0] neg_lo:[0,0,1] neg_hi:[0,0,1]
	s_mov_b32 s2, 0x3f737871
	v_mov_b32_e32 v1, v3
	v_pk_fma_f32 v[2:3], v[230:231], v[168:169], v[6:7] op_sel:[0,0,1] op_sel_hi:[1,1,0]
	v_pk_fma_f32 v[6:7], v[230:231], v[168:169], v[6:7] op_sel:[0,0,1] op_sel_hi:[1,1,0] neg_lo:[0,0,1] neg_hi:[0,0,1]
	s_mov_b32 s12, 0x3f167918
	v_mov_b32_e32 v3, v7
	v_accvgpr_read_b32 v6, a58
	v_accvgpr_read_b32 v7, a59
	s_waitcnt lgkmcnt(1)
	v_pk_mul_f32 v[6:7], v[6:7], v[174:175]
	v_accvgpr_read_b32 v8, a60
	v_accvgpr_read_b32 v9, a61
	v_pk_fma_f32 v[24:25], v[240:241], v[174:175], v[6:7] op_sel:[0,0,1] op_sel_hi:[1,1,0]
	v_pk_fma_f32 v[6:7], v[240:241], v[174:175], v[6:7] op_sel:[0,0,1] op_sel_hi:[1,1,0] neg_lo:[0,0,1] neg_hi:[0,0,1]
	ds_read2_b64 v[166:169], v64 offset0:78 offset1:117
	ds_read2_b64 v[174:177], v44 offset0:212 offset1:251
	v_mov_b32_e32 v25, v7
	s_waitcnt lgkmcnt(2)
	v_pk_mul_f32 v[6:7], v[8:9], v[4:5]
	v_pk_add_f32 v[34:35], v[2:3], v[24:25] neg_lo:[0,1] neg_hi:[0,1]
	v_pk_fma_f32 v[26:27], v[66:67], v[4:5], v[6:7] op_sel:[0,0,1] op_sel_hi:[1,1,0]
	v_pk_fma_f32 v[4:5], v[66:67], v[4:5], v[6:7] op_sel:[0,0,1] op_sel_hi:[1,1,0] neg_lo:[0,0,1] neg_hi:[0,0,1]
	v_pk_add_f32 v[6:7], v[0:1], v[2:3] neg_lo:[0,1] neg_hi:[0,1]
	v_mov_b32_e32 v27, v5
	v_pk_add_f32 v[4:5], v[2:3], v[24:25]
	v_pk_add_f32 v[32:33], v[0:1], v[26:27] neg_lo:[0,1] neg_hi:[0,1]
	v_pk_fma_f32 v[4:5], v[4:5], 0.5, v[116:117] op_sel_hi:[1,0,1] neg_lo:[1,0,0] neg_hi:[1,0,0]
	v_pk_add_f32 v[8:9], v[26:27], v[24:25] neg_lo:[0,1] neg_hi:[0,1]
	s_mov_b32 s8, 0x3e9e377a
	v_pk_add_f32 v[120:121], v[6:7], v[8:9]
	v_pk_fma_f32 v[6:7], v[32:33], s[2:3], v[4:5] op_sel:[1,0,0] op_sel_hi:[0,0,1]
	v_pk_fma_f32 v[4:5], v[32:33], s[2:3], v[4:5] op_sel:[1,0,0] op_sel_hi:[0,0,1] neg_lo:[1,0,0] neg_hi:[1,0,0]
	v_pk_fma_f32 v[122:123], v[34:35], s[12:13], v[4:5] op_sel:[1,0,0] op_sel_hi:[0,0,1] neg_lo:[1,0,0] neg_hi:[1,0,0]
	v_pk_fma_f32 v[142:143], v[34:35], s[12:13], v[6:7] op_sel:[1,0,0] op_sel_hi:[0,0,1]
	v_accvgpr_read_b32 v6, a50
	v_mov_b32_e32 v4, v142
	v_mov_b32_e32 v5, v123
	v_accvgpr_read_b32 v7, a51
	v_pk_fma_f32 v[126:127], v[120:121], s[8:9], v[4:5] op_sel_hi:[1,0,1]
	v_add_u32_e32 v142, 0x1800, v64
	v_pk_mul_f32 v[4:5], v[6:7], v[164:165]
	ds_read2_b64 v[178:181], v142 offset0:90 offset1:129
	v_accvgpr_read_b32 v8, a52
	v_accvgpr_read_b32 v9, a53
	v_pk_fma_f32 v[6:7], v[148:149], v[164:165], v[4:5] op_sel:[0,0,1] op_sel_hi:[1,1,0]
	v_pk_fma_f32 v[4:5], v[148:149], v[164:165], v[4:5] op_sel:[0,0,1] op_sel_hi:[1,1,0] neg_lo:[0,0,1] neg_hi:[0,0,1]
	v_add_u32_e32 v183, 0x400, v64
	v_mov_b32_e32 v7, v5
	s_waitcnt lgkmcnt(1)
	v_pk_mul_f32 v[4:5], v[8:9], v[176:177]
	v_accvgpr_read_b32 v8, a42
	v_pk_fma_f32 v[12:13], v[154:155], v[176:177], v[4:5] op_sel:[0,0,1] op_sel_hi:[1,1,0]
	v_pk_fma_f32 v[4:5], v[154:155], v[176:177], v[4:5] op_sel:[0,0,1] op_sel_hi:[1,1,0] neg_lo:[0,0,1] neg_hi:[0,0,1]
	v_accvgpr_read_b32 v9, a43
	v_mov_b32_e32 v13, v5
	v_pk_mul_f32 v[4:5], v[8:9], v[172:173]
	v_accvgpr_read_b32 v10, a44
	v_accvgpr_read_b32 v11, a45
	v_pk_fma_f32 v[14:15], v[158:159], v[172:173], v[4:5] op_sel:[0,0,1] op_sel_hi:[1,1,0]
	v_pk_fma_f32 v[4:5], v[158:159], v[172:173], v[4:5] op_sel:[0,0,1] op_sel_hi:[1,1,0] neg_lo:[0,0,1] neg_hi:[0,0,1]
	ds_read2_b64 v[16:19], v65 offset0:112 offset1:151
	v_mov_b32_e32 v15, v5
	s_waitcnt lgkmcnt(1)
	v_pk_mul_f32 v[4:5], v[10:11], v[180:181]
	ds_read2_b64 v[8:11], v183 offset0:106 offset1:145
	v_accvgpr_read_b32 v123, a33
	v_pk_fma_f32 v[20:21], v[224:225], v[180:181], v[4:5] op_sel:[0,0,1] op_sel_hi:[1,1,0]
	v_pk_fma_f32 v[4:5], v[224:225], v[180:181], v[4:5] op_sel:[0,0,1] op_sel_hi:[1,1,0] neg_lo:[0,0,1] neg_hi:[0,0,1]
	v_mov_b32_e32 v206, v48
	s_waitcnt lgkmcnt(0)
	v_pk_mul_f32 v[22:23], v[40:41], v[10:11]
	v_mov_b32_e32 v21, v5
	v_pk_fma_f32 v[28:29], v[146:147], v[10:11], v[22:23] op_sel:[0,0,1] op_sel_hi:[1,1,0]
	v_pk_fma_f32 v[10:11], v[146:147], v[10:11], v[22:23] op_sel:[0,0,1] op_sel_hi:[1,1,0] neg_lo:[0,0,1] neg_hi:[0,0,1]
	v_pk_add_f32 v[4:5], v[168:169], v[6:7]
	v_mov_b32_e32 v29, v11
	v_pk_mul_f32 v[10:11], v[42:43], v[174:175]
	v_pk_add_f32 v[4:5], v[4:5], v[12:13]
	v_pk_fma_f32 v[22:23], v[152:153], v[174:175], v[10:11] op_sel:[0,0,1] op_sel_hi:[1,1,0]
	v_pk_fma_f32 v[10:11], v[152:153], v[174:175], v[10:11] op_sel:[0,0,1] op_sel_hi:[1,1,0] neg_lo:[0,0,1] neg_hi:[0,0,1]
	v_accvgpr_read_b32 v155, a65
	v_mov_b32_e32 v23, v11
	v_pk_mul_f32 v[10:11], v[36:37], v[18:19]
	v_accvgpr_read_b32 v153, a63
	v_pk_fma_f32 v[30:31], v[156:157], v[18:19], v[10:11] op_sel:[0,0,1] op_sel_hi:[1,1,0]
	v_pk_fma_f32 v[10:11], v[156:157], v[18:19], v[10:11] op_sel:[0,0,1] op_sel_hi:[1,1,0] neg_lo:[0,0,1] neg_hi:[0,0,1]
	v_accvgpr_read_b32 v152, a62
	v_mov_b32_e32 v31, v11
	v_pk_mul_f32 v[10:11], v[38:39], v[178:179]
	ds_read2_b64 v[36:39], v64 offset1:39
	ds_read2_b64 v[40:43], v44 offset0:134 offset1:173
	ds_read2_b64 v[144:147], v142 offset0:12 offset1:51
	v_pk_mul_f32 v[66:67], v[152:153], v[8:9]
	v_accvgpr_read_b32 v154, a64
	v_pk_fma_f32 v[148:149], v[150:151], v[8:9], v[66:67] op_sel:[0,0,1] op_sel_hi:[1,1,0]
	v_pk_fma_f32 v[8:9], v[150:151], v[8:9], v[66:67] op_sel:[0,0,1] op_sel_hi:[1,1,0] neg_lo:[0,0,1] neg_hi:[0,0,1]
	v_accvgpr_read_b32 v153, a57
	v_mov_b32_e32 v149, v9
	s_waitcnt lgkmcnt(1)
	v_pk_mul_f32 v[8:9], v[154:155], v[42:43]
	v_accvgpr_read_b32 v151, a55
	v_pk_fma_f32 v[66:67], v[160:161], v[42:43], v[8:9] op_sel:[0,0,1] op_sel_hi:[1,1,0]
	v_pk_fma_f32 v[8:9], v[160:161], v[42:43], v[8:9] op_sel:[0,0,1] op_sel_hi:[1,1,0] neg_lo:[0,0,1] neg_hi:[0,0,1]
	v_accvgpr_read_b32 v150, a54
	v_mov_b32_e32 v67, v9
	v_pk_mul_f32 v[8:9], v[150:151], v[16:17]
	v_accvgpr_read_b32 v152, a56
	v_pk_fma_f32 v[42:43], v[226:227], v[16:17], v[8:9] op_sel:[0,0,1] op_sel_hi:[1,1,0]
	v_pk_fma_f32 v[8:9], v[226:227], v[16:17], v[8:9] op_sel:[0,0,1] op_sel_hi:[1,1,0] neg_lo:[0,0,1] neg_hi:[0,0,1]
	v_pk_fma_f32 v[18:19], v[162:163], v[178:179], v[10:11] op_sel:[0,0,1] op_sel_hi:[1,1,0]
	v_mov_b32_e32 v43, v9
	s_waitcnt lgkmcnt(0)
	v_pk_mul_f32 v[8:9], v[152:153], v[146:147]
	v_accvgpr_read_b32 v153, a49
	v_accvgpr_read_b32 v151, a47
	;; [unrolled: 1-line block ×3, first 2 shown]
	v_pk_fma_f32 v[16:17], v[234:235], v[146:147], v[8:9] op_sel:[0,0,1] op_sel_hi:[1,1,0]
	v_pk_fma_f32 v[8:9], v[234:235], v[146:147], v[8:9] op_sel:[0,0,1] op_sel_hi:[1,1,0] neg_lo:[0,0,1] neg_hi:[0,0,1]
	v_pk_mul_f32 v[146:147], v[150:151], v[118:119]
	v_accvgpr_read_b32 v152, a48
	v_pk_fma_f32 v[150:151], v[228:229], v[118:119], v[146:147] op_sel:[0,0,1] op_sel_hi:[1,1,0]
	v_pk_fma_f32 v[118:119], v[228:229], v[118:119], v[146:147] op_sel:[0,0,1] op_sel_hi:[1,1,0] neg_lo:[0,0,1] neg_hi:[0,0,1]
	v_pk_fma_f32 v[10:11], v[162:163], v[178:179], v[10:11] op_sel:[0,0,1] op_sel_hi:[1,1,0] neg_lo:[0,0,1] neg_hi:[0,0,1]
	v_mov_b32_e32 v151, v119
	v_pk_mul_f32 v[118:119], v[152:153], v[40:41]
	v_accvgpr_read_b32 v155, a41
	v_pk_fma_f32 v[146:147], v[238:239], v[40:41], v[118:119] op_sel:[0,0,1] op_sel_hi:[1,1,0]
	v_pk_fma_f32 v[40:41], v[238:239], v[40:41], v[118:119] op_sel:[0,0,1] op_sel_hi:[1,1,0] neg_lo:[0,0,1] neg_hi:[0,0,1]
	v_accvgpr_read_b32 v153, a39
	v_accvgpr_read_b32 v152, a38
	v_mov_b32_e32 v147, v41
	v_pk_mul_f32 v[40:41], v[152:153], v[170:171]
	v_accvgpr_read_b32 v154, a40
	v_pk_fma_f32 v[118:119], v[236:237], v[170:171], v[40:41] op_sel:[0,0,1] op_sel_hi:[1,1,0]
	v_pk_fma_f32 v[40:41], v[236:237], v[170:171], v[40:41] op_sel:[0,0,1] op_sel_hi:[1,1,0] neg_lo:[0,0,1] neg_hi:[0,0,1]
	v_pk_add_f32 v[162:163], v[150:151], v[146:147] neg_lo:[0,1] neg_hi:[0,1]
	v_mov_b32_e32 v119, v41
	v_pk_mul_f32 v[40:41], v[154:155], v[144:145]
	v_pk_add_f32 v[158:159], v[146:147], v[118:119] neg_lo:[0,1] neg_hi:[0,1]
	v_pk_fma_f32 v[152:153], v[232:233], v[144:145], v[40:41] op_sel:[0,0,1] op_sel_hi:[1,1,0]
	v_pk_fma_f32 v[40:41], v[232:233], v[144:145], v[40:41] op_sel:[0,0,1] op_sel_hi:[1,1,0] neg_lo:[0,0,1] neg_hi:[0,0,1]
	v_pk_add_f32 v[144:145], v[146:147], v[118:119]
	v_mov_b32_e32 v153, v41
	v_pk_add_f32 v[154:155], v[150:151], v[152:153] neg_lo:[0,1] neg_hi:[0,1]
	v_pk_fma_f32 v[144:145], v[144:145], 0.5, v[36:37] op_sel_hi:[1,0,1] neg_lo:[1,0,0] neg_hi:[1,0,0]
	v_pk_mul_f32 v[156:157], v[154:155], s[2:3] op_sel_hi:[1,0]
	v_pk_add_f32 v[164:165], v[152:153], v[118:119] neg_lo:[0,1] neg_hi:[0,1]
	v_pk_add_f32 v[40:41], v[36:37], v[150:151]
	v_pk_mul_f32 v[160:161], v[158:159], s[12:13] op_sel_hi:[1,0]
	v_pk_add_f32 v[162:163], v[162:163], v[164:165]
	v_pk_add_f32 v[164:165], v[144:145], v[156:157] op_sel:[0,1] op_sel_hi:[1,0] neg_lo:[0,1] neg_hi:[0,1]
	v_pk_add_f32 v[144:145], v[144:145], v[156:157] op_sel:[0,1] op_sel_hi:[1,0]
	v_pk_add_f32 v[40:41], v[40:41], v[146:147]
	v_pk_add_f32 v[144:145], v[144:145], v[160:161] op_sel:[0,1] op_sel_hi:[1,0]
	v_pk_add_f32 v[156:157], v[164:165], v[160:161] op_sel:[0,1] op_sel_hi:[1,0] neg_lo:[0,1] neg_hi:[0,1]
	v_pk_add_f32 v[40:41], v[40:41], v[118:119]
	v_mov_b32_e32 v160, v156
	v_mov_b32_e32 v161, v145
	v_pk_add_f32 v[40:41], v[40:41], v[152:153]
	v_pk_fma_f32 v[160:161], v[162:163], s[8:9], v[160:161] op_sel_hi:[1,0,1]
	s_barrier
	ds_write2_b64 v123, v[40:41], v[160:161] offset1:13
	v_pk_add_f32 v[40:41], v[150:151], v[152:153]
	v_pk_add_f32 v[118:119], v[118:119], v[152:153] neg_lo:[0,1] neg_hi:[0,1]
	v_pk_fma_f32 v[36:37], v[40:41], 0.5, v[36:37] op_sel_hi:[1,0,1] neg_lo:[1,0,0] neg_hi:[1,0,0]
	v_pk_add_f32 v[40:41], v[146:147], v[150:151] neg_lo:[0,1] neg_hi:[0,1]
	v_pk_mul_f32 v[146:147], v[154:155], s[12:13] op_sel_hi:[1,0]
	v_pk_add_f32 v[40:41], v[40:41], v[118:119]
	v_pk_mul_f32 v[118:119], v[158:159], s[2:3] op_sel_hi:[1,0]
	v_mov_b32_e32 v145, v157
	v_pk_add_f32 v[150:151], v[36:37], v[118:119] op_sel:[0,1] op_sel_hi:[1,0]
	v_pk_add_f32 v[36:37], v[36:37], v[118:119] op_sel:[0,1] op_sel_hi:[1,0] neg_lo:[0,1] neg_hi:[0,1]
	v_pk_add_f32 v[118:119], v[150:151], v[146:147] op_sel:[0,1] op_sel_hi:[1,0] neg_lo:[0,1] neg_hi:[0,1]
	v_pk_add_f32 v[36:37], v[36:37], v[146:147] op_sel:[0,1] op_sel_hi:[1,0]
	v_mov_b32_e32 v146, v118
	v_mov_b32_e32 v147, v37
	;; [unrolled: 1-line block ×3, first 2 shown]
	v_pk_fma_f32 v[146:147], v[40:41], s[8:9], v[146:147] op_sel_hi:[1,0,1]
	v_pk_fma_f32 v[36:37], v[40:41], s[8:9], v[36:37] op_sel_hi:[1,0,1]
	v_mov_b32_e32 v17, v9
	ds_write2_b64 v123, v[146:147], v[36:37] offset0:26 offset1:39
	v_pk_fma_f32 v[36:37], v[162:163], s[8:9], v[144:145] op_sel_hi:[1,0,1]
	ds_write_b64 v123, v[36:37] offset:416
	v_pk_add_f32 v[36:37], v[66:67], v[42:43]
	v_pk_add_f32 v[40:41], v[148:149], v[16:17] neg_lo:[0,1] neg_hi:[0,1]
	v_pk_fma_f32 v[36:37], v[36:37], 0.5, v[38:39] op_sel_hi:[1,0,1] neg_lo:[1,0,0] neg_hi:[1,0,0]
	v_pk_mul_f32 v[118:119], v[40:41], s[2:3] op_sel_hi:[1,0]
	v_pk_add_f32 v[144:145], v[66:67], v[42:43] neg_lo:[0,1] neg_hi:[0,1]
	v_pk_add_f32 v[150:151], v[148:149], v[66:67] neg_lo:[0,1] neg_hi:[0,1]
	;; [unrolled: 1-line block ×3, first 2 shown]
	v_pk_add_f32 v[8:9], v[38:39], v[148:149]
	v_pk_mul_f32 v[146:147], v[144:145], s[12:13] op_sel_hi:[1,0]
	v_pk_add_f32 v[150:151], v[150:151], v[152:153]
	v_pk_add_f32 v[152:153], v[36:37], v[118:119] op_sel:[0,1] op_sel_hi:[1,0] neg_lo:[0,1] neg_hi:[0,1]
	v_pk_add_f32 v[36:37], v[36:37], v[118:119] op_sel:[0,1] op_sel_hi:[1,0]
	v_pk_add_f32 v[8:9], v[8:9], v[66:67]
	v_pk_add_f32 v[36:37], v[36:37], v[146:147] op_sel:[0,1] op_sel_hi:[1,0]
	v_pk_add_f32 v[118:119], v[152:153], v[146:147] op_sel:[0,1] op_sel_hi:[1,0] neg_lo:[0,1] neg_hi:[0,1]
	v_pk_add_f32 v[8:9], v[8:9], v[42:43]
	v_mov_b32_e32 v146, v118
	v_mov_b32_e32 v147, v37
	v_pk_add_f32 v[8:9], v[8:9], v[16:17]
	v_pk_fma_f32 v[146:147], v[150:151], s[8:9], v[146:147] op_sel_hi:[1,0,1]
	v_accvgpr_read_b32 v118, a32
	ds_write2_b64 v118, v[8:9], v[146:147] offset1:13
	v_pk_add_f32 v[8:9], v[148:149], v[16:17]
	v_pk_add_f32 v[16:17], v[42:43], v[16:17] neg_lo:[0,1] neg_hi:[0,1]
	v_pk_fma_f32 v[8:9], v[8:9], 0.5, v[38:39] op_sel_hi:[1,0,1] neg_lo:[1,0,0] neg_hi:[1,0,0]
	v_pk_add_f32 v[38:39], v[66:67], v[148:149] neg_lo:[0,1] neg_hi:[0,1]
	v_pk_mul_f32 v[40:41], v[40:41], s[12:13] op_sel_hi:[1,0]
	v_pk_add_f32 v[16:17], v[38:39], v[16:17]
	v_pk_mul_f32 v[38:39], v[144:145], s[2:3] op_sel_hi:[1,0]
	v_mov_b32_e32 v37, v119
	v_pk_add_f32 v[42:43], v[8:9], v[38:39] op_sel:[0,1] op_sel_hi:[1,0]
	v_pk_add_f32 v[8:9], v[8:9], v[38:39] op_sel:[0,1] op_sel_hi:[1,0] neg_lo:[0,1] neg_hi:[0,1]
	v_pk_add_f32 v[38:39], v[42:43], v[40:41] op_sel:[0,1] op_sel_hi:[1,0] neg_lo:[0,1] neg_hi:[0,1]
	v_pk_add_f32 v[8:9], v[8:9], v[40:41] op_sel:[0,1] op_sel_hi:[1,0]
	v_mov_b32_e32 v40, v38
	v_mov_b32_e32 v41, v9
	;; [unrolled: 1-line block ×3, first 2 shown]
	v_pk_fma_f32 v[40:41], v[16:17], s[8:9], v[40:41] op_sel_hi:[1,0,1]
	v_pk_fma_f32 v[8:9], v[16:17], s[8:9], v[8:9] op_sel_hi:[1,0,1]
	v_mov_b32_e32 v19, v11
	ds_write2_b64 v118, v[40:41], v[8:9] offset0:26 offset1:39
	v_pk_fma_f32 v[8:9], v[150:151], s[8:9], v[36:37] op_sel_hi:[1,0,1]
	ds_write_b64 v118, v[8:9] offset:416
	v_pk_add_f32 v[8:9], v[22:23], v[30:31]
	v_pk_add_f32 v[16:17], v[28:29], v[18:19] neg_lo:[0,1] neg_hi:[0,1]
	v_pk_fma_f32 v[8:9], v[8:9], 0.5, v[166:167] op_sel_hi:[1,0,1] neg_lo:[1,0,0] neg_hi:[1,0,0]
	v_pk_mul_f32 v[36:37], v[16:17], s[2:3] op_sel_hi:[1,0]
	v_pk_add_f32 v[38:39], v[22:23], v[30:31] neg_lo:[0,1] neg_hi:[0,1]
	v_pk_add_f32 v[42:43], v[28:29], v[22:23] neg_lo:[0,1] neg_hi:[0,1]
	;; [unrolled: 1-line block ×3, first 2 shown]
	v_pk_add_f32 v[10:11], v[166:167], v[28:29]
	v_pk_mul_f32 v[40:41], v[38:39], s[12:13] op_sel_hi:[1,0]
	v_pk_add_f32 v[42:43], v[42:43], v[66:67]
	v_pk_add_f32 v[66:67], v[8:9], v[36:37] op_sel:[0,1] op_sel_hi:[1,0] neg_lo:[0,1] neg_hi:[0,1]
	v_pk_add_f32 v[8:9], v[8:9], v[36:37] op_sel:[0,1] op_sel_hi:[1,0]
	v_pk_add_f32 v[10:11], v[10:11], v[22:23]
	v_pk_add_f32 v[8:9], v[8:9], v[40:41] op_sel:[0,1] op_sel_hi:[1,0]
	v_pk_add_f32 v[36:37], v[66:67], v[40:41] op_sel:[0,1] op_sel_hi:[1,0] neg_lo:[0,1] neg_hi:[0,1]
	v_pk_add_f32 v[10:11], v[10:11], v[30:31]
	v_mov_b32_e32 v40, v36
	v_mov_b32_e32 v41, v9
	v_pk_add_f32 v[10:11], v[10:11], v[18:19]
	v_pk_fma_f32 v[40:41], v[42:43], s[8:9], v[40:41] op_sel_hi:[1,0,1]
	v_accvgpr_read_b32 v36, a19
	ds_write2_b64 v36, v[10:11], v[40:41] offset1:13
	v_pk_add_f32 v[10:11], v[28:29], v[18:19]
	v_pk_add_f32 v[22:23], v[22:23], v[28:29] neg_lo:[0,1] neg_hi:[0,1]
	v_pk_add_f32 v[18:19], v[30:31], v[18:19] neg_lo:[0,1] neg_hi:[0,1]
	v_pk_fma_f32 v[10:11], v[10:11], 0.5, v[166:167] op_sel_hi:[1,0,1] neg_lo:[1,0,0] neg_hi:[1,0,0]
	v_pk_add_f32 v[18:19], v[22:23], v[18:19]
	v_pk_mul_f32 v[22:23], v[38:39], s[2:3] op_sel_hi:[1,0]
	v_pk_mul_f32 v[16:17], v[16:17], s[12:13] op_sel_hi:[1,0]
	v_pk_add_f32 v[28:29], v[10:11], v[22:23] op_sel:[0,1] op_sel_hi:[1,0]
	v_pk_add_f32 v[10:11], v[10:11], v[22:23] op_sel:[0,1] op_sel_hi:[1,0] neg_lo:[0,1] neg_hi:[0,1]
	v_mov_b32_e32 v9, v37
	v_pk_add_f32 v[10:11], v[10:11], v[16:17] op_sel:[0,1] op_sel_hi:[1,0]
	v_pk_add_f32 v[16:17], v[28:29], v[16:17] op_sel:[0,1] op_sel_hi:[1,0] neg_lo:[0,1] neg_hi:[0,1]
	v_mov_b32_e32 v23, v11
	v_mov_b32_e32 v22, v16
	v_mov_b32_e32 v11, v17
	v_pk_fma_f32 v[22:23], v[18:19], s[8:9], v[22:23] op_sel_hi:[1,0,1]
	v_pk_fma_f32 v[10:11], v[18:19], s[8:9], v[10:11] op_sel_hi:[1,0,1]
	;; [unrolled: 1-line block ×3, first 2 shown]
	ds_write2_b64 v36, v[22:23], v[10:11] offset0:26 offset1:39
	ds_write_b64 v36, v[8:9] offset:416
	v_pk_add_f32 v[8:9], v[12:13], v[14:15]
	v_pk_add_f32 v[10:11], v[6:7], v[20:21] neg_lo:[0,1] neg_hi:[0,1]
	v_pk_fma_f32 v[8:9], v[8:9], 0.5, v[168:169] op_sel_hi:[1,0,1] neg_lo:[1,0,0] neg_hi:[1,0,0]
	v_pk_mul_f32 v[16:17], v[10:11], s[2:3] op_sel_hi:[1,0]
	v_pk_add_f32 v[18:19], v[12:13], v[14:15] neg_lo:[0,1] neg_hi:[0,1]
	v_pk_add_f32 v[28:29], v[6:7], v[12:13] neg_lo:[0,1] neg_hi:[0,1]
	;; [unrolled: 1-line block ×3, first 2 shown]
	v_pk_mul_f32 v[22:23], v[18:19], s[12:13] op_sel_hi:[1,0]
	v_pk_add_f32 v[28:29], v[28:29], v[30:31]
	v_pk_add_f32 v[30:31], v[8:9], v[16:17] op_sel:[0,1] op_sel_hi:[1,0] neg_lo:[0,1] neg_hi:[0,1]
	v_pk_add_f32 v[8:9], v[8:9], v[16:17] op_sel:[0,1] op_sel_hi:[1,0]
	v_pk_add_f32 v[16:17], v[30:31], v[22:23] op_sel:[0,1] op_sel_hi:[1,0] neg_lo:[0,1] neg_hi:[0,1]
	v_pk_add_f32 v[8:9], v[8:9], v[22:23] op_sel:[0,1] op_sel_hi:[1,0]
	v_pk_add_f32 v[4:5], v[4:5], v[14:15]
	v_mov_b32_e32 v22, v16
	v_mov_b32_e32 v23, v9
	v_pk_add_f32 v[4:5], v[4:5], v[20:21]
	v_pk_fma_f32 v[22:23], v[28:29], s[8:9], v[22:23] op_sel_hi:[1,0,1]
	v_accvgpr_read_b32 v16, a11
	ds_write2_b64 v16, v[4:5], v[22:23] offset1:13
	v_pk_add_f32 v[4:5], v[6:7], v[20:21]
	v_pk_add_f32 v[6:7], v[12:13], v[6:7] neg_lo:[0,1] neg_hi:[0,1]
	v_pk_add_f32 v[12:13], v[14:15], v[20:21] neg_lo:[0,1] neg_hi:[0,1]
	v_pk_fma_f32 v[4:5], v[4:5], 0.5, v[168:169] op_sel_hi:[1,0,1] neg_lo:[1,0,0] neg_hi:[1,0,0]
	v_pk_add_f32 v[6:7], v[6:7], v[12:13]
	v_pk_mul_f32 v[12:13], v[18:19], s[2:3] op_sel_hi:[1,0]
	v_pk_mul_f32 v[10:11], v[10:11], s[12:13] op_sel_hi:[1,0]
	v_pk_add_f32 v[14:15], v[4:5], v[12:13] op_sel:[0,1] op_sel_hi:[1,0]
	v_pk_add_f32 v[4:5], v[4:5], v[12:13] op_sel:[0,1] op_sel_hi:[1,0] neg_lo:[0,1] neg_hi:[0,1]
	v_mov_b32_e32 v9, v17
	v_pk_add_f32 v[4:5], v[4:5], v[10:11] op_sel:[0,1] op_sel_hi:[1,0]
	v_pk_add_f32 v[10:11], v[14:15], v[10:11] op_sel:[0,1] op_sel_hi:[1,0] neg_lo:[0,1] neg_hi:[0,1]
	v_mov_b32_e32 v13, v5
	v_mov_b32_e32 v12, v10
	;; [unrolled: 1-line block ×3, first 2 shown]
	v_pk_fma_f32 v[12:13], v[6:7], s[8:9], v[12:13] op_sel_hi:[1,0,1]
	v_pk_fma_f32 v[4:5], v[6:7], s[8:9], v[4:5] op_sel_hi:[1,0,1]
	ds_write2_b64 v16, v[12:13], v[4:5] offset0:26 offset1:39
	v_pk_fma_f32 v[4:5], v[28:29], s[8:9], v[8:9] op_sel_hi:[1,0,1]
	ds_write_b64 v16, v[4:5] offset:416
	v_pk_add_f32 v[4:5], v[116:117], v[0:1]
	v_mov_b32_e32 v123, v143
	v_pk_add_f32 v[4:5], v[4:5], v[2:3]
	v_pk_fma_f32 v[6:7], v[120:121], s[8:9], v[122:123] op_sel_hi:[1,0,1]
	v_pk_add_f32 v[4:5], v[4:5], v[24:25]
	v_accvgpr_read_b32 v8, a69
	v_pk_add_f32 v[4:5], v[4:5], v[26:27]
	ds_write2_b64 v8, v[4:5], v[6:7] offset1:13
	v_pk_add_f32 v[4:5], v[0:1], v[26:27]
	v_pk_add_f32 v[0:1], v[2:3], v[0:1] neg_lo:[0,1] neg_hi:[0,1]
	v_pk_fma_f32 v[4:5], v[4:5], 0.5, v[116:117] op_sel_hi:[1,0,1] neg_lo:[1,0,0] neg_hi:[1,0,0]
	v_pk_add_f32 v[2:3], v[24:25], v[26:27] neg_lo:[0,1] neg_hi:[0,1]
	v_mov_b32_e32 v207, v48
	v_pk_add_f32 v[0:1], v[0:1], v[2:3]
	v_pk_fma_f32 v[2:3], v[34:35], s[2:3], v[4:5] op_sel:[1,0,0] op_sel_hi:[0,0,1]
	v_pk_fma_f32 v[4:5], v[34:35], s[2:3], v[4:5] op_sel:[1,0,0] op_sel_hi:[0,0,1] neg_lo:[1,0,0] neg_hi:[1,0,0]
	v_pk_fma_f32 v[4:5], v[32:33], s[12:13], v[4:5] op_sel:[1,0,0] op_sel_hi:[0,0,1]
	v_pk_fma_f32 v[2:3], v[32:33], s[12:13], v[2:3] op_sel:[1,0,0] op_sel_hi:[0,0,1] neg_lo:[1,0,0] neg_hi:[1,0,0]
	v_mov_b32_e32 v6, v2
	v_mov_b32_e32 v7, v5
	;; [unrolled: 1-line block ×3, first 2 shown]
	v_pk_fma_f32 v[6:7], v[0:1], s[8:9], v[6:7] op_sel_hi:[1,0,1]
	v_pk_fma_f32 v[0:1], v[0:1], s[8:9], v[4:5] op_sel_hi:[1,0,1]
	ds_write2_b64 v8, v[6:7], v[0:1] offset0:26 offset1:39
	ds_write_b64 v8, v[126:127] offset:416
	s_waitcnt lgkmcnt(0)
	s_barrier
	ds_read2_b64 v[40:43], v64 offset1:39
	ds_read2_b64 v[120:123], v44 offset0:69 offset1:108
	ds_read2_b64 v[116:119], v65 offset0:138 offset1:177
	;; [unrolled: 1-line block ×6, first 2 shown]
	v_add_u32_e32 v0, 0xc00, v64
	ds_read2_b64 v[24:27], v0 offset0:97 offset1:136
	ds_read2_b64 v[20:23], v142 offset0:38 offset1:77
	;; [unrolled: 1-line block ×5, first 2 shown]
	v_mov_b32_e32 v48, v49
	v_mov_b32_e32 v204, v50
	;; [unrolled: 1-line block ×38, first 2 shown]
	s_and_saveexec_b64 s[2:3], s[0:1]
	s_cbranch_execz .LBB0_19
; %bb.18:
	ds_read_b64 v[126:127], v64 offset:2496
	ds_read_b64 a[86:87], v64 offset:5096
	;; [unrolled: 1-line block ×3, first 2 shown]
.LBB0_19:
	s_or_b64 exec, exec, s[2:3]
	v_accvgpr_read_b32 v2, a81
	v_add_u32_e32 v182, 0x270, v2
	v_add_u32_e32 v66, 0x3a8, v2
	;; [unrolled: 1-line block ×3, first 2 shown]
	s_waitcnt lgkmcnt(10)
	v_pk_mul_f32 v[2:3], v[184:185], v[120:121]
	s_waitcnt lgkmcnt(9)
	v_pk_mul_f32 v[184:185], v[186:187], v[116:117]
	v_pk_fma_f32 v[186:187], v[210:211], v[120:121], v[2:3] op_sel:[0,0,1] op_sel_hi:[1,1,0]
	v_pk_fma_f32 v[2:3], v[210:211], v[120:121], v[2:3] op_sel:[0,0,1] op_sel_hi:[1,1,0] neg_lo:[0,0,1] neg_hi:[0,0,1]
	s_mov_b32 s2, 0x3f5db3d7
	v_mov_b32_e32 v187, v3
	v_pk_fma_f32 v[2:3], v[208:209], v[116:117], v[184:185] op_sel:[0,0,1] op_sel_hi:[1,1,0]
	v_pk_fma_f32 v[116:117], v[208:209], v[116:117], v[184:185] op_sel:[0,0,1] op_sel_hi:[1,1,0] neg_lo:[0,0,1] neg_hi:[0,0,1]
	v_pk_mul_f32 v[48:49], v[48:49], v[122:123]
	v_mov_b32_e32 v3, v117
	v_pk_add_f32 v[116:117], v[186:187], v[2:3]
	v_pk_add_f32 v[120:121], v[186:187], v[2:3] neg_lo:[0,1] neg_hi:[0,1]
	v_pk_fma_f32 v[116:117], v[116:117], 0.5, v[40:41] op_sel_hi:[1,0,1] neg_lo:[1,0,0] neg_hi:[1,0,0]
	v_pk_mul_f32 v[120:121], v[120:121], s[2:3] op_sel_hi:[1,0]
	v_pk_add_f32 v[40:41], v[40:41], v[186:187]
	v_pk_add_f32 v[184:185], v[116:117], v[120:121] op_sel:[0,1] op_sel_hi:[1,0]
	v_pk_add_f32 v[116:117], v[116:117], v[120:121] op_sel:[0,1] op_sel_hi:[1,0] neg_lo:[0,1] neg_hi:[0,1]
	v_pk_add_f32 v[2:3], v[40:41], v[2:3]
	v_mov_b32_e32 v40, v116
	v_mov_b32_e32 v41, v185
	v_pk_mul_f32 v[50:51], v[50:51], v[118:119]
	s_waitcnt lgkmcnt(0)
	s_barrier
	ds_write2_b64 v64, v[2:3], v[40:41] offset1:65
	v_pk_fma_f32 v[2:3], v[206:207], v[122:123], v[48:49] op_sel:[0,0,1] op_sel_hi:[1,1,0]
	v_pk_fma_f32 v[40:41], v[206:207], v[122:123], v[48:49] op_sel:[0,0,1] op_sel_hi:[1,1,0] neg_lo:[0,0,1] neg_hi:[0,0,1]
	v_pk_fma_f32 v[48:49], v[204:205], v[118:119], v[50:51] op_sel:[0,0,1] op_sel_hi:[1,1,0] neg_lo:[0,0,1] neg_hi:[0,0,1]
	v_mov_b32_e32 v3, v41
	v_pk_fma_f32 v[40:41], v[204:205], v[118:119], v[50:51] op_sel:[0,0,1] op_sel_hi:[1,1,0]
	v_pk_mul_f32 v[56:57], v[56:57], v[36:37]
	v_mov_b32_e32 v41, v49
	v_pk_add_f32 v[48:49], v[42:43], v[2:3]
	v_pk_add_f32 v[50:51], v[2:3], v[40:41]
	v_pk_add_f32 v[2:3], v[2:3], v[40:41] neg_lo:[0,1] neg_hi:[0,1]
	v_pk_fma_f32 v[42:43], v[50:51], 0.5, v[42:43] op_sel_hi:[1,0,1] neg_lo:[1,0,0] neg_hi:[1,0,0]
	v_pk_mul_f32 v[2:3], v[2:3], s[2:3] op_sel_hi:[1,0]
	v_pk_add_f32 v[48:49], v[48:49], v[40:41]
	v_pk_add_f32 v[40:41], v[42:43], v[2:3] op_sel:[0,1] op_sel_hi:[1,0] neg_lo:[0,1] neg_hi:[0,1]
	v_pk_add_f32 v[2:3], v[42:43], v[2:3] op_sel:[0,1] op_sel_hi:[1,0]
	v_mov_b32_e32 v185, v117
	v_mov_b32_e32 v42, v40
	;; [unrolled: 1-line block ×3, first 2 shown]
	v_accvgpr_read_b32 v40, a74
	v_mov_b32_e32 v3, v41
	v_pk_mul_f32 v[58:59], v[58:59], v[32:33]
	ds_write_b64 v64, v[184:185] offset:1040
	ds_write_b64 v40, v[2:3] offset:1040
	v_pk_fma_f32 v[2:3], v[202:203], v[36:37], v[56:57] op_sel:[0,0,1] op_sel_hi:[1,1,0]
	v_pk_fma_f32 v[36:37], v[202:203], v[36:37], v[56:57] op_sel:[0,0,1] op_sel_hi:[1,1,0] neg_lo:[0,0,1] neg_hi:[0,0,1]
	ds_write2_b64 v40, v[48:49], v[42:43] offset1:65
	v_mov_b32_e32 v3, v37
	v_pk_fma_f32 v[36:37], v[200:201], v[32:33], v[58:59] op_sel:[0,0,1] op_sel_hi:[1,1,0]
	v_pk_fma_f32 v[32:33], v[200:201], v[32:33], v[58:59] op_sel:[0,0,1] op_sel_hi:[1,1,0] neg_lo:[0,0,1] neg_hi:[0,0,1]
	v_pk_mul_f32 v[76:77], v[76:77], v[38:39]
	v_mov_b32_e32 v37, v33
	v_pk_add_f32 v[32:33], v[2:3], v[36:37]
	v_pk_add_f32 v[40:41], v[2:3], v[36:37] neg_lo:[0,1] neg_hi:[0,1]
	v_pk_fma_f32 v[32:33], v[32:33], 0.5, v[28:29] op_sel_hi:[1,0,1] neg_lo:[1,0,0] neg_hi:[1,0,0]
	v_pk_mul_f32 v[40:41], v[40:41], s[2:3] op_sel_hi:[1,0]
	v_pk_add_f32 v[2:3], v[28:29], v[2:3]
	v_pk_add_f32 v[42:43], v[32:33], v[40:41] op_sel:[0,1] op_sel_hi:[1,0]
	v_pk_add_f32 v[32:33], v[32:33], v[40:41] op_sel:[0,1] op_sel_hi:[1,0] neg_lo:[0,1] neg_hi:[0,1]
	v_pk_add_f32 v[2:3], v[2:3], v[36:37]
	v_mov_b32_e32 v28, v32
	v_mov_b32_e32 v29, v43
	v_pk_mul_f32 v[78:79], v[78:79], v[34:35]
	ds_write2_b64 v183, v[2:3], v[28:29] offset0:80 offset1:145
	v_pk_fma_f32 v[2:3], v[198:199], v[38:39], v[76:77] op_sel:[0,0,1] op_sel_hi:[1,1,0]
	v_pk_fma_f32 v[28:29], v[198:199], v[38:39], v[76:77] op_sel:[0,0,1] op_sel_hi:[1,1,0] neg_lo:[0,0,1] neg_hi:[0,0,1]
	v_mov_b32_e32 v43, v33
	v_mov_b32_e32 v3, v29
	v_pk_fma_f32 v[28:29], v[140:141], v[34:35], v[78:79] op_sel:[0,0,1] op_sel_hi:[1,1,0]
	v_pk_fma_f32 v[32:33], v[140:141], v[34:35], v[78:79] op_sel:[0,0,1] op_sel_hi:[1,1,0] neg_lo:[0,0,1] neg_hi:[0,0,1]
	v_pk_mul_f32 v[84:85], v[84:85], v[24:25]
	v_mov_b32_e32 v29, v33
	v_pk_add_f32 v[32:33], v[30:31], v[2:3]
	v_pk_add_f32 v[34:35], v[2:3], v[28:29]
	v_pk_add_f32 v[2:3], v[2:3], v[28:29] neg_lo:[0,1] neg_hi:[0,1]
	v_pk_fma_f32 v[30:31], v[34:35], 0.5, v[30:31] op_sel_hi:[1,0,1] neg_lo:[1,0,0] neg_hi:[1,0,0]
	v_pk_mul_f32 v[2:3], v[2:3], s[2:3] op_sel_hi:[1,0]
	v_pk_add_f32 v[32:33], v[32:33], v[28:29]
	v_pk_add_f32 v[28:29], v[30:31], v[2:3] op_sel:[0,1] op_sel_hi:[1,0] neg_lo:[0,1] neg_hi:[0,1]
	v_pk_add_f32 v[2:3], v[30:31], v[2:3] op_sel:[0,1] op_sel_hi:[1,0]
	v_mov_b32_e32 v30, v28
	v_mov_b32_e32 v31, v3
	v_accvgpr_read_b32 v28, a75
	v_mov_b32_e32 v3, v29
	v_pk_mul_f32 v[86:87], v[86:87], v[20:21]
	ds_write_b64 v64, v[42:43] offset:2704
	ds_write_b64 v28, v[2:3] offset:1040
	v_pk_fma_f32 v[2:3], v[138:139], v[24:25], v[84:85] op_sel:[0,0,1] op_sel_hi:[1,1,0]
	v_pk_fma_f32 v[24:25], v[138:139], v[24:25], v[84:85] op_sel:[0,0,1] op_sel_hi:[1,1,0] neg_lo:[0,0,1] neg_hi:[0,0,1]
	ds_write2_b64 v28, v[32:33], v[30:31] offset1:65
	v_mov_b32_e32 v3, v25
	v_pk_fma_f32 v[24:25], v[136:137], v[20:21], v[86:87] op_sel:[0,0,1] op_sel_hi:[1,1,0]
	v_pk_fma_f32 v[20:21], v[136:137], v[20:21], v[86:87] op_sel:[0,0,1] op_sel_hi:[1,1,0] neg_lo:[0,0,1] neg_hi:[0,0,1]
	v_pk_mul_f32 v[80:81], v[80:81], v[26:27]
	v_mov_b32_e32 v25, v21
	v_pk_add_f32 v[20:21], v[16:17], v[2:3]
	v_pk_add_f32 v[28:29], v[2:3], v[24:25]
	v_pk_add_f32 v[2:3], v[2:3], v[24:25] neg_lo:[0,1] neg_hi:[0,1]
	v_pk_fma_f32 v[16:17], v[28:29], 0.5, v[16:17] op_sel_hi:[1,0,1] neg_lo:[1,0,0] neg_hi:[1,0,0]
	v_pk_mul_f32 v[2:3], v[2:3], s[2:3] op_sel_hi:[1,0]
	v_pk_add_f32 v[20:21], v[20:21], v[24:25]
	v_pk_add_f32 v[24:25], v[16:17], v[2:3] op_sel:[0,1] op_sel_hi:[1,0] neg_lo:[0,1] neg_hi:[0,1]
	v_pk_add_f32 v[2:3], v[16:17], v[2:3] op_sel:[0,1] op_sel_hi:[1,0]
	v_mov_b32_e32 v16, v24
	v_accvgpr_read_b32 v24, a76
	v_mov_b32_e32 v17, v3
	v_add_u32_e32 v3, 0x800, v24
	ds_write2_b64 v3, v[20:21], v[16:17] offset0:134 offset1:199
	v_mov_b32_e32 v3, v25
	v_pk_mul_f32 v[82:83], v[82:83], v[22:23]
	ds_write_b64 v24, v[2:3] offset:4160
	v_pk_fma_f32 v[2:3], v[134:135], v[26:27], v[80:81] op_sel:[0,0,1] op_sel_hi:[1,1,0]
	v_pk_fma_f32 v[16:17], v[134:135], v[26:27], v[80:81] op_sel:[0,0,1] op_sel_hi:[1,1,0] neg_lo:[0,0,1] neg_hi:[0,0,1]
	v_pk_fma_f32 v[20:21], v[132:133], v[22:23], v[82:83] op_sel:[0,0,1] op_sel_hi:[1,1,0] neg_lo:[0,0,1] neg_hi:[0,0,1]
	v_mov_b32_e32 v3, v17
	v_pk_fma_f32 v[16:17], v[132:133], v[22:23], v[82:83] op_sel:[0,0,1] op_sel_hi:[1,1,0]
	v_pk_mul_f32 v[68:69], v[68:69], v[12:13]
	v_mov_b32_e32 v17, v21
	v_pk_add_f32 v[20:21], v[18:19], v[2:3]
	v_pk_add_f32 v[22:23], v[2:3], v[16:17]
	v_pk_add_f32 v[2:3], v[2:3], v[16:17] neg_lo:[0,1] neg_hi:[0,1]
	v_pk_fma_f32 v[18:19], v[22:23], 0.5, v[18:19] op_sel_hi:[1,0,1] neg_lo:[1,0,0] neg_hi:[1,0,0]
	v_pk_mul_f32 v[2:3], v[2:3], s[2:3] op_sel_hi:[1,0]
	v_pk_add_f32 v[20:21], v[20:21], v[16:17]
	v_pk_add_f32 v[16:17], v[18:19], v[2:3] op_sel:[0,1] op_sel_hi:[1,0] neg_lo:[0,1] neg_hi:[0,1]
	v_pk_add_f32 v[2:3], v[18:19], v[2:3] op_sel:[0,1] op_sel_hi:[1,0]
	v_mov_b32_e32 v18, v16
	v_accvgpr_read_b32 v16, a77
	v_mov_b32_e32 v19, v3
	v_add_u32_e32 v3, 0x1000, v16
	ds_write2_b64 v3, v[20:21], v[18:19] offset0:73 offset1:138
	v_mov_b32_e32 v3, v17
	v_pk_mul_f32 v[70:71], v[70:71], v[8:9]
	ds_write_b64 v16, v[2:3] offset:5720
	v_pk_fma_f32 v[2:3], v[130:131], v[12:13], v[68:69] op_sel:[0,0,1] op_sel_hi:[1,1,0]
	v_pk_fma_f32 v[12:13], v[130:131], v[12:13], v[68:69] op_sel:[0,0,1] op_sel_hi:[1,1,0] neg_lo:[0,0,1] neg_hi:[0,0,1]
	v_pk_mul_f32 v[44:45], v[44:45], v[14:15]
	v_mov_b32_e32 v3, v13
	v_pk_fma_f32 v[12:13], v[128:129], v[8:9], v[70:71] op_sel:[0,0,1] op_sel_hi:[1,1,0]
	v_pk_fma_f32 v[8:9], v[128:129], v[8:9], v[70:71] op_sel:[0,0,1] op_sel_hi:[1,1,0] neg_lo:[0,0,1] neg_hi:[0,0,1]
	v_pk_mul_f32 v[46:47], v[46:47], v[10:11]
	v_mov_b32_e32 v13, v9
	v_pk_add_f32 v[8:9], v[2:3], v[12:13]
	v_pk_add_f32 v[16:17], v[2:3], v[12:13] neg_lo:[0,1] neg_hi:[0,1]
	v_pk_fma_f32 v[8:9], v[8:9], 0.5, v[4:5] op_sel_hi:[1,0,1] neg_lo:[1,0,0] neg_hi:[1,0,0]
	v_pk_mul_f32 v[16:17], v[16:17], s[2:3] op_sel_hi:[1,0]
	v_pk_add_f32 v[2:3], v[4:5], v[2:3]
	v_pk_add_f32 v[18:19], v[8:9], v[16:17] op_sel:[0,1] op_sel_hi:[1,0]
	v_pk_add_f32 v[8:9], v[8:9], v[16:17] op_sel:[0,1] op_sel_hi:[1,0] neg_lo:[0,1] neg_hi:[0,1]
	v_pk_add_f32 v[2:3], v[2:3], v[12:13]
	v_mov_b32_e32 v4, v8
	v_mov_b32_e32 v5, v19
	v_accvgpr_read_b32 v8, a79
	ds_write2_b64 v8, v[2:3], v[4:5] offset1:65
	v_pk_fma_f32 v[2:3], v[124:125], v[14:15], v[44:45] op_sel:[0,0,1] op_sel_hi:[1,1,0]
	v_pk_fma_f32 v[4:5], v[124:125], v[14:15], v[44:45] op_sel:[0,0,1] op_sel_hi:[1,1,0] neg_lo:[0,0,1] neg_hi:[0,0,1]
	v_mov_b32_e32 v19, v9
	v_mov_b32_e32 v3, v5
	v_pk_fma_f32 v[4:5], v[0:1], v[10:11], v[46:47] op_sel:[0,0,1] op_sel_hi:[1,1,0]
	v_pk_fma_f32 v[0:1], v[0:1], v[10:11], v[46:47] op_sel:[0,0,1] op_sel_hi:[1,1,0] neg_lo:[0,0,1] neg_hi:[0,0,1]
	ds_write_b64 v8, v[18:19] offset:1040
	v_mov_b32_e32 v5, v1
	v_pk_add_f32 v[0:1], v[2:3], v[4:5]
	v_pk_add_f32 v[8:9], v[2:3], v[4:5] neg_lo:[0,1] neg_hi:[0,1]
	v_pk_fma_f32 v[0:1], v[0:1], 0.5, v[6:7] op_sel_hi:[1,0,1] neg_lo:[1,0,0] neg_hi:[1,0,0]
	v_pk_mul_f32 v[8:9], v[8:9], s[2:3] op_sel_hi:[1,0]
	v_pk_add_f32 v[2:3], v[6:7], v[2:3]
	v_pk_add_f32 v[10:11], v[0:1], v[8:9] op_sel:[0,1] op_sel_hi:[1,0]
	v_pk_add_f32 v[0:1], v[0:1], v[8:9] op_sel:[0,1] op_sel_hi:[1,0] neg_lo:[0,1] neg_hi:[0,1]
	v_accvgpr_read_b32 v6, a80
	v_mov_b32_e32 v164, v88
	v_mov_b32_e32 v165, v88
	;; [unrolled: 1-line block ×60, first 2 shown]
	v_pk_add_f32 v[2:3], v[2:3], v[4:5]
	v_mov_b32_e32 v4, v0
	v_mov_b32_e32 v5, v11
	v_add_u32_e32 v0, 0x1800, v6
	v_mov_b32_e32 v11, v1
	ds_write2_b64 v0, v[2:3], v[4:5] offset0:12 offset1:77
	ds_write_b64 v6, v[10:11] offset:7280
	s_and_saveexec_b64 s[8:9], s[0:1]
	s_cbranch_execz .LBB0_21
; %bb.20:
	v_accvgpr_read_b32 v6, a34
	v_accvgpr_read_b32 v12, a86
	;; [unrolled: 1-line block ×8, first 2 shown]
	v_pk_mul_f32 v[0:1], v[6:7], v[12:13] op_sel:[0,1]
	v_mov_b32_e32 v2, v11
	v_pk_mul_f32 v[2:3], v[8:9], v[2:3] op_sel_hi:[1,0]
	v_pk_fma_f32 v[4:5], v[6:7], v[12:13], v[0:1] op_sel:[0,0,1] op_sel_hi:[1,1,0]
	v_pk_fma_f32 v[0:1], v[6:7], v[12:13], v[0:1] op_sel:[0,0,1] op_sel_hi:[1,0,0] neg_lo:[1,0,0] neg_hi:[1,0,0]
	s_nop 0
	v_mov_b32_e32 v5, v1
	v_pk_fma_f32 v[0:1], v[8:9], v[10:11], v[2:3] op_sel:[0,0,1] op_sel_hi:[1,1,0]
	v_pk_fma_f32 v[2:3], v[8:9], v[10:11], v[2:3] op_sel:[0,0,1] op_sel_hi:[1,0,0] neg_lo:[1,0,0] neg_hi:[1,0,0]
	s_nop 0
	v_mov_b32_e32 v1, v3
	v_pk_add_f32 v[2:3], v[4:5], v[0:1]
	v_pk_add_f32 v[6:7], v[4:5], v[0:1] neg_lo:[0,1] neg_hi:[0,1]
	v_pk_fma_f32 v[2:3], -0.5, v[2:3], v[126:127] op_sel_hi:[0,1,1]
	v_pk_mul_f32 v[6:7], v[6:7], s[2:3] op_sel_hi:[1,0]
	v_pk_add_f32 v[4:5], v[126:127], v[4:5]
	v_pk_add_f32 v[8:9], v[2:3], v[6:7] op_sel:[0,1] op_sel_hi:[1,0]
	v_pk_add_f32 v[2:3], v[2:3], v[6:7] op_sel:[0,1] op_sel_hi:[1,0] neg_lo:[0,1] neg_hi:[0,1]
	v_accvgpr_read_b32 v6, a78
	v_pk_add_f32 v[0:1], v[4:5], v[0:1]
	v_mov_b32_e32 v4, v2
	v_mov_b32_e32 v5, v9
	v_add_u32_e32 v2, 0x1800, v6
	v_mov_b32_e32 v9, v3
	ds_write2_b64 v2, v[0:1], v[4:5] offset0:12 offset1:77
	ds_write_b64 v6, v[8:9] offset:7280
.LBB0_21:
	s_or_b64 exec, exec, s[8:9]
	s_waitcnt lgkmcnt(0)
	s_barrier
	ds_read2_b64 v[12:15], v64 offset1:39
	ds_read2_b64 v[0:3], v64 offset0:156 offset1:195
	v_add_u32_e32 v11, 0x800, v64
	ds_read2_b64 v[16:19], v11 offset0:134 offset1:173
	v_add_u32_e32 v10, 0x1000, v64
	;; [unrolled: 2-line block ×3, first 2 shown]
	s_waitcnt lgkmcnt(2)
	v_pk_mul_f32 v[28:29], v[112:113], v[2:3]
	ds_read2_b64 v[24:27], v9 offset0:12 offset1:51
	v_pk_fma_f32 v[36:37], v[180:181], v[2:3], v[28:29] op_sel:[0,0,1] op_sel_hi:[1,1,0]
	v_pk_fma_f32 v[2:3], v[180:181], v[2:3], v[28:29] op_sel:[0,0,1] op_sel_hi:[1,1,0] neg_lo:[0,0,1] neg_hi:[0,0,1]
	ds_read2_b64 v[28:31], v10 offset0:112 offset1:151
	v_mov_b32_e32 v37, v3
	s_waitcnt lgkmcnt(3)
	v_pk_mul_f32 v[2:3], v[114:115], v[16:17]
	v_accvgpr_read_b32 v116, a18
	v_pk_fma_f32 v[38:39], v[178:179], v[16:17], v[2:3] op_sel:[0,0,1] op_sel_hi:[1,1,0]
	v_pk_fma_f32 v[2:3], v[178:179], v[16:17], v[2:3] op_sel:[0,0,1] op_sel_hi:[1,1,0] neg_lo:[0,0,1] neg_hi:[0,0,1]
	v_pk_add_f32 v[16:17], v[12:13], v[36:37]
	v_mov_b32_e32 v39, v3
	s_waitcnt lgkmcnt(2)
	v_pk_mul_f32 v[2:3], v[108:109], v[22:23]
	v_pk_add_f32 v[16:17], v[16:17], v[38:39]
	v_pk_fma_f32 v[40:41], v[176:177], v[22:23], v[2:3] op_sel:[0,0,1] op_sel_hi:[1,1,0]
	v_pk_fma_f32 v[2:3], v[176:177], v[22:23], v[2:3] op_sel:[0,0,1] op_sel_hi:[1,1,0] neg_lo:[0,0,1] neg_hi:[0,0,1]
	s_mov_b32 s2, 0x3f737871
	v_mov_b32_e32 v41, v3
	s_waitcnt lgkmcnt(1)
	v_pk_mul_f32 v[2:3], v[110:111], v[24:25]
	v_pk_add_f32 v[16:17], v[16:17], v[40:41]
	v_pk_fma_f32 v[42:43], v[174:175], v[24:25], v[2:3] op_sel:[0,0,1] op_sel_hi:[1,1,0]
	v_pk_fma_f32 v[2:3], v[174:175], v[24:25], v[2:3] op_sel:[0,0,1] op_sel_hi:[1,1,0] neg_lo:[0,0,1] neg_hi:[0,0,1]
	v_mad_u64_u32 v[6:7], s[0:1], s6, v116, 0
	v_add_u32_e32 v2, 0x400, v64
	ds_read2_b64 v[22:25], v2 offset0:106 offset1:145
	v_mov_b32_e32 v43, v3
	v_pk_add_f32 v[44:45], v[16:17], v[42:43]
	v_pk_add_f32 v[80:81], v[38:39], v[40:41] neg_lo:[0,1] neg_hi:[0,1]
	s_mov_b32 s6, 0x3f167918
	s_waitcnt lgkmcnt(0)
	v_pk_mul_f32 v[16:17], v[104:105], v[22:23]
	v_pk_add_f32 v[84:85], v[36:37], v[38:39] neg_lo:[0,1] neg_hi:[0,1]
	v_pk_fma_f32 v[46:47], v[172:173], v[22:23], v[16:17] op_sel:[0,0,1] op_sel_hi:[1,1,0]
	v_pk_fma_f32 v[16:17], v[172:173], v[22:23], v[16:17] op_sel:[0,0,1] op_sel_hi:[1,1,0] neg_lo:[0,0,1] neg_hi:[0,0,1]
	v_pk_mul_f32 v[22:23], v[88:89], v[24:25]
	v_mov_b32_e32 v47, v17
	v_pk_mul_f32 v[16:17], v[106:107], v[18:19]
	v_pk_fma_f32 v[68:69], v[164:165], v[24:25], v[22:23] op_sel:[0,0,1] op_sel_hi:[1,1,0]
	v_pk_fma_f32 v[48:49], v[170:171], v[18:19], v[16:17] op_sel:[0,0,1] op_sel_hi:[1,1,0]
	v_pk_fma_f32 v[16:17], v[170:171], v[18:19], v[16:17] op_sel:[0,0,1] op_sel_hi:[1,1,0] neg_lo:[0,0,1] neg_hi:[0,0,1]
	v_pk_fma_f32 v[22:23], v[164:165], v[24:25], v[22:23] op_sel:[0,0,1] op_sel_hi:[1,1,0] neg_lo:[0,0,1] neg_hi:[0,0,1]
	v_mov_b32_e32 v49, v17
	v_pk_mul_f32 v[16:17], v[100:101], v[28:29]
	v_mov_b32_e32 v69, v23
	v_pk_fma_f32 v[50:51], v[168:169], v[28:29], v[16:17] op_sel:[0,0,1] op_sel_hi:[1,1,0]
	v_pk_fma_f32 v[16:17], v[168:169], v[28:29], v[16:17] op_sel:[0,0,1] op_sel_hi:[1,1,0] neg_lo:[0,0,1] neg_hi:[0,0,1]
	v_pk_add_f32 v[86:87], v[42:43], v[40:41] neg_lo:[0,1] neg_hi:[0,1]
	v_mov_b32_e32 v51, v17
	v_pk_mul_f32 v[16:17], v[102:103], v[26:27]
	v_pk_mul_f32 v[82:83], v[80:81], s[6:7] op_sel_hi:[1,0]
	v_pk_fma_f32 v[56:57], v[166:167], v[26:27], v[16:17] op_sel:[0,0,1] op_sel_hi:[1,1,0]
	v_pk_fma_f32 v[16:17], v[166:167], v[26:27], v[16:17] op_sel:[0,0,1] op_sel_hi:[1,1,0] neg_lo:[0,0,1] neg_hi:[0,0,1]
	v_pk_add_f32 v[84:85], v[84:85], v[86:87]
	v_mov_b32_e32 v57, v17
	v_pk_add_f32 v[16:17], v[14:15], v[46:47]
	s_mov_b32 s0, 0x3e9e377a
	v_pk_add_f32 v[16:17], v[16:17], v[48:49]
	v_add_u32_e32 v3, 0x600, v64
	v_pk_add_f32 v[16:17], v[16:17], v[50:51]
	v_mov_b32_e32 v8, v7
	v_pk_add_f32 v[58:59], v[16:17], v[56:57]
	ds_read2_b64 v[16:19], v64 offset0:78 offset1:117
	ds_read2_b64 v[26:29], v11 offset0:212 offset1:251
	;; [unrolled: 1-line block ×3, first 2 shown]
	ds_write2_b64 v64, v[44:45], v[58:59] offset1:39
	v_pk_add_f32 v[44:45], v[48:49], v[50:51] neg_lo:[0,1] neg_hi:[0,1]
	v_add_u32_e32 v7, 0x1200, v64
	s_waitcnt lgkmcnt(2)
	v_pk_mul_f32 v[22:23], v[90:91], v[26:27]
	v_pk_mul_f32 v[58:59], v[44:45], s[6:7] op_sel_hi:[1,0]
	v_pk_fma_f32 v[70:71], v[162:163], v[26:27], v[22:23] op_sel:[0,0,1] op_sel_hi:[1,1,0]
	v_pk_fma_f32 v[22:23], v[162:163], v[26:27], v[22:23] op_sel:[0,0,1] op_sel_hi:[1,1,0] neg_lo:[0,0,1] neg_hi:[0,0,1]
	v_pk_mul_f32 v[44:45], v[44:45], s[2:3] op_sel_hi:[1,0]
	v_mov_b32_e32 v71, v23
	v_pk_mul_f32 v[22:23], v[72:73], v[30:31]
	v_mov_b32_e32 v4, s10
	v_pk_fma_f32 v[26:27], v[160:161], v[30:31], v[22:23] op_sel:[0,0,1] op_sel_hi:[1,1,0]
	v_pk_fma_f32 v[22:23], v[160:161], v[30:31], v[22:23] op_sel:[0,0,1] op_sel_hi:[1,1,0] neg_lo:[0,0,1] neg_hi:[0,0,1]
	v_pk_add_f32 v[30:31], v[16:17], v[68:69]
	v_mov_b32_e32 v27, v23
	s_waitcnt lgkmcnt(1)
	v_pk_mul_f32 v[22:23], v[74:75], v[32:33]
	v_pk_add_f32 v[30:31], v[30:31], v[70:71]
	v_pk_fma_f32 v[72:73], v[158:159], v[32:33], v[22:23] op_sel:[0,0,1] op_sel_hi:[1,1,0]
	v_pk_fma_f32 v[22:23], v[158:159], v[32:33], v[22:23] op_sel:[0,0,1] op_sel_hi:[1,1,0] neg_lo:[0,0,1] neg_hi:[0,0,1]
	v_pk_add_f32 v[30:31], v[30:31], v[26:27]
	v_mov_b32_e32 v73, v23
	ds_read2_b64 v[22:25], v11 offset0:56 offset1:95
	v_pk_add_f32 v[74:75], v[30:31], v[72:73]
	ds_read2_b64 v[30:33], v10 offset0:190 offset1:229
	v_mov_b32_e32 v5, s11
	s_waitcnt lgkmcnt(1)
	v_pk_mul_f32 v[60:61], v[60:61], v[22:23]
	s_nop 0
	v_pk_fma_f32 v[76:77], v[156:157], v[22:23], v[60:61] op_sel:[0,0,1] op_sel_hi:[1,1,0]
	v_pk_fma_f32 v[22:23], v[156:157], v[22:23], v[60:61] op_sel:[0,0,1] op_sel_hi:[1,1,0] neg_lo:[0,0,1] neg_hi:[0,0,1]
	s_nop 0
	v_mov_b32_e32 v77, v23
	v_pk_mul_f32 v[22:23], v[62:63], v[28:29]
	v_pk_add_f32 v[62:63], v[36:37], v[42:43] neg_lo:[0,1] neg_hi:[0,1]
	v_pk_fma_f32 v[60:61], v[154:155], v[28:29], v[22:23] op_sel:[0,0,1] op_sel_hi:[1,1,0]
	v_pk_fma_f32 v[22:23], v[154:155], v[28:29], v[22:23] op_sel:[0,0,1] op_sel_hi:[1,1,0] neg_lo:[0,0,1] neg_hi:[0,0,1]
	v_pk_mul_f32 v[78:79], v[62:63], s[2:3] op_sel_hi:[1,0]
	v_mov_b32_e32 v61, v23
	s_waitcnt lgkmcnt(0)
	v_pk_mul_f32 v[22:23], v[52:53], v[30:31]
	v_pk_mul_f32 v[52:53], v[96:97], v[24:25]
	v_pk_fma_f32 v[28:29], v[152:153], v[30:31], v[22:23] op_sel:[0,0,1] op_sel_hi:[1,1,0]
	v_pk_fma_f32 v[22:23], v[152:153], v[30:31], v[22:23] op_sel:[0,0,1] op_sel_hi:[1,1,0] neg_lo:[0,0,1] neg_hi:[0,0,1]
	s_nop 0
	v_mov_b32_e32 v29, v23
	v_pk_mul_f32 v[22:23], v[54:55], v[34:35]
	v_pk_fma_f32 v[54:55], v[148:149], v[24:25], v[52:53] op_sel:[0,0,1] op_sel_hi:[1,1,0]
	v_pk_fma_f32 v[30:31], v[150:151], v[34:35], v[22:23] op_sel:[0,0,1] op_sel_hi:[1,1,0]
	v_pk_fma_f32 v[22:23], v[150:151], v[34:35], v[22:23] op_sel:[0,0,1] op_sel_hi:[1,1,0] neg_lo:[0,0,1] neg_hi:[0,0,1]
	ds_read_b64 v[34:35], v64 offset:7488
	v_pk_fma_f32 v[24:25], v[148:149], v[24:25], v[52:53] op_sel:[0,0,1] op_sel_hi:[1,1,0] neg_lo:[0,0,1] neg_hi:[0,0,1]
	v_mov_b32_e32 v31, v23
	v_mov_b32_e32 v55, v25
	v_pk_mul_f32 v[24:25], v[98:99], v[20:21]
	v_pk_add_f32 v[22:23], v[18:19], v[76:77]
	v_pk_fma_f32 v[52:53], v[146:147], v[20:21], v[24:25] op_sel:[0,0,1] op_sel_hi:[1,1,0]
	v_pk_fma_f32 v[20:21], v[146:147], v[20:21], v[24:25] op_sel:[0,0,1] op_sel_hi:[1,1,0] neg_lo:[0,0,1] neg_hi:[0,0,1]
	v_pk_add_f32 v[22:23], v[22:23], v[60:61]
	v_mov_b32_e32 v53, v21
	v_pk_mul_f32 v[20:21], v[92:93], v[32:33]
	v_pk_add_f32 v[22:23], v[22:23], v[28:29]
	v_pk_fma_f32 v[24:25], v[144:145], v[32:33], v[20:21] op_sel:[0,0,1] op_sel_hi:[1,1,0]
	v_pk_fma_f32 v[20:21], v[144:145], v[32:33], v[20:21] op_sel:[0,0,1] op_sel_hi:[1,1,0] neg_lo:[0,0,1] neg_hi:[0,0,1]
	v_pk_add_f32 v[22:23], v[22:23], v[30:31]
	v_mov_b32_e32 v25, v21
	s_waitcnt lgkmcnt(0)
	v_pk_mul_f32 v[20:21], v[94:95], v[34:35]
	s_nop 0
	v_pk_fma_f32 v[32:33], v[142:143], v[34:35], v[20:21] op_sel:[0,0,1] op_sel_hi:[1,1,0]
	v_pk_fma_f32 v[20:21], v[142:143], v[34:35], v[20:21] op_sel:[0,0,1] op_sel_hi:[1,1,0] neg_lo:[0,0,1] neg_hi:[0,0,1]
	v_pk_add_f32 v[34:35], v[38:39], v[40:41]
	v_mov_b32_e32 v33, v21
	v_pk_fma_f32 v[34:35], v[34:35], 0.5, v[12:13] op_sel_hi:[1,0,1] neg_lo:[1,0,0] neg_hi:[1,0,0]
	v_pk_add_f32 v[20:21], v[0:1], v[54:55]
	v_pk_add_f32 v[86:87], v[34:35], v[78:79] op_sel:[0,1] op_sel_hi:[1,0] neg_lo:[0,1] neg_hi:[0,1]
	v_pk_add_f32 v[34:35], v[34:35], v[78:79] op_sel:[0,1] op_sel_hi:[1,0]
	v_pk_add_f32 v[78:79], v[86:87], v[82:83] op_sel:[0,1] op_sel_hi:[1,0] neg_lo:[0,1] neg_hi:[0,1]
	v_pk_add_f32 v[86:87], v[36:37], v[42:43]
	v_pk_add_f32 v[36:37], v[38:39], v[36:37] neg_lo:[0,1] neg_hi:[0,1]
	v_pk_add_f32 v[38:39], v[40:41], v[42:43] neg_lo:[0,1] neg_hi:[0,1]
	v_pk_fma_f32 v[12:13], v[86:87], 0.5, v[12:13] op_sel_hi:[1,0,1] neg_lo:[1,0,0] neg_hi:[1,0,0]
	v_pk_add_f32 v[36:37], v[36:37], v[38:39]
	v_pk_mul_f32 v[38:39], v[80:81], s[2:3] op_sel_hi:[1,0]
	v_pk_mul_f32 v[40:41], v[62:63], s[6:7] op_sel_hi:[1,0]
	v_pk_add_f32 v[42:43], v[12:13], v[38:39] op_sel:[0,1] op_sel_hi:[1,0]
	v_pk_add_f32 v[12:13], v[12:13], v[38:39] op_sel:[0,1] op_sel_hi:[1,0] neg_lo:[0,1] neg_hi:[0,1]
	v_pk_add_f32 v[38:39], v[42:43], v[40:41] op_sel:[0,1] op_sel_hi:[1,0] neg_lo:[0,1] neg_hi:[0,1]
	v_pk_add_f32 v[12:13], v[12:13], v[40:41] op_sel:[0,1] op_sel_hi:[1,0]
	v_mov_b32_e32 v40, v38
	v_mov_b32_e32 v41, v13
	;; [unrolled: 1-line block ×3, first 2 shown]
	v_pk_add_f32 v[34:35], v[34:35], v[82:83] op_sel:[0,1] op_sel_hi:[1,0]
	v_pk_fma_f32 v[40:41], v[36:37], s[0:1], v[40:41] op_sel_hi:[1,0,1]
	v_pk_fma_f32 v[12:13], v[36:37], s[0:1], v[12:13] op_sel_hi:[1,0,1]
	v_pk_add_f32 v[36:37], v[48:49], v[50:51]
	v_pk_add_f32 v[38:39], v[46:47], v[56:57] neg_lo:[0,1] neg_hi:[0,1]
	v_mov_b32_e32 v82, v78
	v_mov_b32_e32 v83, v35
	;; [unrolled: 1-line block ×3, first 2 shown]
	v_pk_fma_f32 v[36:37], v[36:37], 0.5, v[14:15] op_sel_hi:[1,0,1] neg_lo:[1,0,0] neg_hi:[1,0,0]
	v_pk_mul_f32 v[42:43], v[38:39], s[2:3] op_sel_hi:[1,0]
	v_pk_add_f32 v[62:63], v[46:47], v[48:49] neg_lo:[0,1] neg_hi:[0,1]
	v_pk_add_f32 v[78:79], v[56:57], v[50:51] neg_lo:[0,1] neg_hi:[0,1]
	v_pk_mul_f32 v[38:39], v[38:39], s[6:7] op_sel_hi:[1,0]
	v_pk_add_f32 v[62:63], v[62:63], v[78:79]
	v_pk_add_f32 v[78:79], v[36:37], v[42:43] op_sel:[0,1] op_sel_hi:[1,0] neg_lo:[0,1] neg_hi:[0,1]
	v_pk_add_f32 v[36:37], v[36:37], v[42:43] op_sel:[0,1] op_sel_hi:[1,0]
	v_pk_add_f32 v[42:43], v[78:79], v[58:59] op_sel:[0,1] op_sel_hi:[1,0] neg_lo:[0,1] neg_hi:[0,1]
	v_pk_add_f32 v[36:37], v[36:37], v[58:59] op_sel:[0,1] op_sel_hi:[1,0]
	v_mov_b32_e32 v58, v42
	v_mov_b32_e32 v59, v37
	v_pk_fma_f32 v[58:59], v[62:63], s[0:1], v[58:59] op_sel_hi:[1,0,1]
	ds_write2_b64 v3, v[58:59], v[40:41] offset0:42 offset1:198
	v_pk_add_f32 v[40:41], v[46:47], v[56:57]
	v_add_u32_e32 v3, 0xc00, v64
	v_pk_fma_f32 v[14:15], v[40:41], 0.5, v[14:15] op_sel_hi:[1,0,1] neg_lo:[1,0,0] neg_hi:[1,0,0]
	v_pk_add_f32 v[40:41], v[48:49], v[46:47] neg_lo:[0,1] neg_hi:[0,1]
	v_pk_add_f32 v[46:47], v[50:51], v[56:57] neg_lo:[0,1] neg_hi:[0,1]
	v_pk_fma_f32 v[34:35], v[84:85], s[0:1], v[34:35] op_sel_hi:[1,0,1]
	v_pk_add_f32 v[40:41], v[40:41], v[46:47]
	v_pk_add_f32 v[46:47], v[14:15], v[44:45] op_sel:[0,1] op_sel_hi:[1,0]
	v_pk_add_f32 v[14:15], v[14:15], v[44:45] op_sel:[0,1] op_sel_hi:[1,0] neg_lo:[0,1] neg_hi:[0,1]
	v_mov_b32_e32 v37, v43
	v_pk_add_f32 v[14:15], v[14:15], v[38:39] op_sel:[0,1] op_sel_hi:[1,0]
	v_pk_add_f32 v[38:39], v[46:47], v[38:39] op_sel:[0,1] op_sel_hi:[1,0] neg_lo:[0,1] neg_hi:[0,1]
	v_mov_b32_e32 v45, v15
	v_mov_b32_e32 v44, v38
	v_pk_fma_f32 v[44:45], v[40:41], s[0:1], v[44:45] op_sel_hi:[1,0,1]
	v_mov_b32_e32 v15, v39
	ds_write2_b64 v3, v[44:45], v[12:13] offset0:45 offset1:201
	v_pk_fma_f32 v[12:13], v[40:41], s[0:1], v[14:15] op_sel_hi:[1,0,1]
	ds_write2_b64 v7, v[12:13], v[34:35] offset0:48 offset1:204
	v_pk_fma_f32 v[12:13], v[62:63], s[0:1], v[36:37] op_sel_hi:[1,0,1]
	ds_write_b64 v64, v[12:13] offset:6552
	v_pk_add_f32 v[12:13], v[70:71], v[26:27]
	v_pk_add_f32 v[14:15], v[68:69], v[72:73] neg_lo:[0,1] neg_hi:[0,1]
	v_pk_fma_f32 v[12:13], v[12:13], 0.5, v[16:17] op_sel_hi:[1,0,1] neg_lo:[1,0,0] neg_hi:[1,0,0]
	v_pk_mul_f32 v[34:35], v[14:15], s[2:3] op_sel_hi:[1,0]
	v_pk_add_f32 v[36:37], v[70:71], v[26:27] neg_lo:[0,1] neg_hi:[0,1]
	v_pk_add_f32 v[40:41], v[68:69], v[70:71] neg_lo:[0,1] neg_hi:[0,1]
	;; [unrolled: 1-line block ×3, first 2 shown]
	v_pk_mul_f32 v[38:39], v[36:37], s[6:7] op_sel_hi:[1,0]
	v_pk_add_f32 v[40:41], v[40:41], v[42:43]
	v_pk_add_f32 v[42:43], v[12:13], v[34:35] op_sel:[0,1] op_sel_hi:[1,0] neg_lo:[0,1] neg_hi:[0,1]
	v_pk_add_f32 v[12:13], v[12:13], v[34:35] op_sel:[0,1] op_sel_hi:[1,0]
	v_pk_add_f32 v[34:35], v[42:43], v[38:39] op_sel:[0,1] op_sel_hi:[1,0] neg_lo:[0,1] neg_hi:[0,1]
	v_pk_add_f32 v[42:43], v[68:69], v[72:73]
	v_pk_add_f32 v[26:27], v[26:27], v[72:73] neg_lo:[0,1] neg_hi:[0,1]
	v_pk_fma_f32 v[16:17], v[42:43], 0.5, v[16:17] op_sel_hi:[1,0,1] neg_lo:[1,0,0] neg_hi:[1,0,0]
	v_pk_add_f32 v[42:43], v[70:71], v[68:69] neg_lo:[0,1] neg_hi:[0,1]
	v_pk_mul_f32 v[36:37], v[36:37], s[2:3] op_sel_hi:[1,0]
	v_pk_add_f32 v[26:27], v[42:43], v[26:27]
	v_pk_mul_f32 v[14:15], v[14:15], s[6:7] op_sel_hi:[1,0]
	v_pk_add_f32 v[42:43], v[16:17], v[36:37] op_sel:[0,1] op_sel_hi:[1,0]
	v_pk_add_f32 v[16:17], v[16:17], v[36:37] op_sel:[0,1] op_sel_hi:[1,0] neg_lo:[0,1] neg_hi:[0,1]
	v_pk_add_f32 v[12:13], v[12:13], v[38:39] op_sel:[0,1] op_sel_hi:[1,0]
	v_pk_add_f32 v[16:17], v[16:17], v[14:15] op_sel:[0,1] op_sel_hi:[1,0]
	v_pk_add_f32 v[14:15], v[42:43], v[14:15] op_sel:[0,1] op_sel_hi:[1,0] neg_lo:[0,1] neg_hi:[0,1]
	v_mov_b32_e32 v38, v34
	v_mov_b32_e32 v39, v13
	v_mov_b32_e32 v36, v14
	v_mov_b32_e32 v37, v17
	v_pk_fma_f32 v[38:39], v[40:41], s[0:1], v[38:39] op_sel_hi:[1,0,1]
	v_pk_fma_f32 v[36:37], v[26:27], s[0:1], v[36:37] op_sel_hi:[1,0,1]
	v_add_u32_e32 v7, 0x600, v182
	v_mov_b32_e32 v17, v15
	v_mov_b32_e32 v13, v35
	ds_write2_b64 v7, v[38:39], v[36:37] offset0:3 offset1:198
	v_pk_fma_f32 v[14:15], v[26:27], s[0:1], v[16:17] op_sel_hi:[1,0,1]
	v_pk_fma_f32 v[12:13], v[40:41], s[0:1], v[12:13] op_sel_hi:[1,0,1]
	v_add_u32_e32 v7, 0x1200, v182
	ds_write2_b64 v7, v[14:15], v[12:13] offset0:9 offset1:204
	ds_write2_b64 v64, v[74:75], v[22:23] offset0:78 offset1:117
	v_pk_add_f32 v[12:13], v[60:61], v[28:29]
	v_pk_add_f32 v[14:15], v[76:77], v[30:31] neg_lo:[0,1] neg_hi:[0,1]
	v_pk_fma_f32 v[12:13], v[12:13], 0.5, v[18:19] op_sel_hi:[1,0,1] neg_lo:[1,0,0] neg_hi:[1,0,0]
	v_pk_mul_f32 v[16:17], v[14:15], s[2:3] op_sel_hi:[1,0]
	v_pk_add_f32 v[22:23], v[60:61], v[28:29] neg_lo:[0,1] neg_hi:[0,1]
	v_pk_add_f32 v[34:35], v[76:77], v[60:61] neg_lo:[0,1] neg_hi:[0,1]
	;; [unrolled: 1-line block ×3, first 2 shown]
	v_pk_mul_f32 v[26:27], v[22:23], s[6:7] op_sel_hi:[1,0]
	v_pk_add_f32 v[34:35], v[34:35], v[36:37]
	v_pk_add_f32 v[36:37], v[12:13], v[16:17] op_sel:[0,1] op_sel_hi:[1,0] neg_lo:[0,1] neg_hi:[0,1]
	v_pk_add_f32 v[12:13], v[12:13], v[16:17] op_sel:[0,1] op_sel_hi:[1,0]
	v_pk_add_f32 v[16:17], v[36:37], v[26:27] op_sel:[0,1] op_sel_hi:[1,0] neg_lo:[0,1] neg_hi:[0,1]
	v_pk_add_f32 v[36:37], v[76:77], v[30:31]
	v_pk_mul_f32 v[22:23], v[22:23], s[2:3] op_sel_hi:[1,0]
	v_pk_fma_f32 v[18:19], v[36:37], 0.5, v[18:19] op_sel_hi:[1,0,1] neg_lo:[1,0,0] neg_hi:[1,0,0]
	v_pk_add_f32 v[28:29], v[28:29], v[30:31] neg_lo:[0,1] neg_hi:[0,1]
	v_pk_mul_f32 v[14:15], v[14:15], s[6:7] op_sel_hi:[1,0]
	v_pk_add_f32 v[30:31], v[18:19], v[22:23] op_sel:[0,1] op_sel_hi:[1,0]
	v_pk_add_f32 v[18:19], v[18:19], v[22:23] op_sel:[0,1] op_sel_hi:[1,0] neg_lo:[0,1] neg_hi:[0,1]
	v_pk_add_f32 v[12:13], v[12:13], v[26:27] op_sel:[0,1] op_sel_hi:[1,0]
	v_pk_add_f32 v[36:37], v[60:61], v[76:77] neg_lo:[0,1] neg_hi:[0,1]
	v_pk_add_f32 v[18:19], v[18:19], v[14:15] op_sel:[0,1] op_sel_hi:[1,0]
	v_pk_add_f32 v[14:15], v[30:31], v[14:15] op_sel:[0,1] op_sel_hi:[1,0] neg_lo:[0,1] neg_hi:[0,1]
	v_mov_b32_e32 v26, v16
	v_mov_b32_e32 v27, v13
	v_pk_add_f32 v[28:29], v[36:37], v[28:29]
	v_mov_b32_e32 v22, v14
	v_mov_b32_e32 v23, v19
	v_pk_add_f32 v[20:21], v[20:21], v[52:53]
	v_pk_fma_f32 v[26:27], v[34:35], s[0:1], v[26:27] op_sel_hi:[1,0,1]
	v_pk_fma_f32 v[22:23], v[28:29], s[0:1], v[22:23] op_sel_hi:[1,0,1]
	v_add_u32_e32 v7, 0x600, v66
	v_mov_b32_e32 v19, v15
	v_mov_b32_e32 v13, v17
	v_pk_add_f32 v[20:21], v[20:21], v[24:25]
	ds_write2_b64 v7, v[26:27], v[22:23] offset0:3 offset1:198
	v_pk_fma_f32 v[14:15], v[28:29], s[0:1], v[18:19] op_sel_hi:[1,0,1]
	v_pk_fma_f32 v[12:13], v[34:35], s[0:1], v[12:13] op_sel_hi:[1,0,1]
	v_add_u32_e32 v7, 0x1200, v66
	v_pk_add_f32 v[20:21], v[20:21], v[32:33]
	v_pk_fma_f32 v[82:83], v[84:85], s[0:1], v[82:83] op_sel_hi:[1,0,1]
	ds_write2_b64 v7, v[14:15], v[12:13] offset0:9 offset1:204
	ds_write2_b64 v64, v[20:21], v[82:83] offset0:156 offset1:195
	v_pk_add_f32 v[12:13], v[52:53], v[24:25]
	v_pk_add_f32 v[14:15], v[54:55], v[32:33] neg_lo:[0,1] neg_hi:[0,1]
	v_pk_fma_f32 v[12:13], v[12:13], 0.5, v[0:1] op_sel_hi:[1,0,1] neg_lo:[1,0,0] neg_hi:[1,0,0]
	v_pk_mul_f32 v[16:17], v[14:15], s[2:3] op_sel_hi:[1,0]
	v_pk_add_f32 v[18:19], v[52:53], v[24:25] neg_lo:[0,1] neg_hi:[0,1]
	v_pk_add_f32 v[22:23], v[54:55], v[52:53] neg_lo:[0,1] neg_hi:[0,1]
	v_pk_add_f32 v[26:27], v[32:33], v[24:25] neg_lo:[0,1] neg_hi:[0,1]
	v_pk_mul_f32 v[20:21], v[18:19], s[6:7] op_sel_hi:[1,0]
	v_pk_add_f32 v[22:23], v[22:23], v[26:27]
	v_pk_add_f32 v[26:27], v[12:13], v[16:17] op_sel:[0,1] op_sel_hi:[1,0] neg_lo:[0,1] neg_hi:[0,1]
	v_pk_add_f32 v[12:13], v[12:13], v[16:17] op_sel:[0,1] op_sel_hi:[1,0]
	v_pk_add_f32 v[16:17], v[26:27], v[20:21] op_sel:[0,1] op_sel_hi:[1,0] neg_lo:[0,1] neg_hi:[0,1]
	v_pk_add_f32 v[26:27], v[54:55], v[32:33]
	v_pk_add_f32 v[24:25], v[24:25], v[32:33] neg_lo:[0,1] neg_hi:[0,1]
	v_pk_fma_f32 v[0:1], v[26:27], 0.5, v[0:1] op_sel_hi:[1,0,1] neg_lo:[1,0,0] neg_hi:[1,0,0]
	v_pk_add_f32 v[26:27], v[52:53], v[54:55] neg_lo:[0,1] neg_hi:[0,1]
	v_pk_mul_f32 v[18:19], v[18:19], s[2:3] op_sel_hi:[1,0]
	v_pk_add_f32 v[24:25], v[26:27], v[24:25]
	v_pk_mul_f32 v[14:15], v[14:15], s[6:7] op_sel_hi:[1,0]
	v_pk_add_f32 v[26:27], v[0:1], v[18:19] op_sel:[0,1] op_sel_hi:[1,0]
	v_pk_add_f32 v[0:1], v[0:1], v[18:19] op_sel:[0,1] op_sel_hi:[1,0] neg_lo:[0,1] neg_hi:[0,1]
	v_pk_add_f32 v[12:13], v[12:13], v[20:21] op_sel:[0,1] op_sel_hi:[1,0]
	v_pk_add_f32 v[0:1], v[0:1], v[14:15] op_sel:[0,1] op_sel_hi:[1,0]
	v_pk_add_f32 v[14:15], v[26:27], v[14:15] op_sel:[0,1] op_sel_hi:[1,0] neg_lo:[0,1] neg_hi:[0,1]
	v_mov_b32_e32 v20, v16
	v_mov_b32_e32 v21, v13
	;; [unrolled: 1-line block ×4, first 2 shown]
	v_pk_fma_f32 v[20:21], v[22:23], s[0:1], v[20:21] op_sel_hi:[1,0,1]
	v_pk_fma_f32 v[18:19], v[24:25], s[0:1], v[18:19] op_sel_hi:[1,0,1]
	v_add_u32_e32 v1, 0x600, v65
	ds_write2_b64 v1, v[20:21], v[18:19] offset0:3 offset1:198
	v_mov_b32_e32 v1, v15
	v_mov_b32_e32 v13, v17
	v_pk_fma_f32 v[0:1], v[24:25], s[0:1], v[0:1] op_sel_hi:[1,0,1]
	v_pk_fma_f32 v[12:13], v[22:23], s[0:1], v[12:13] op_sel_hi:[1,0,1]
	v_add_u32_e32 v7, 0x1200, v65
	ds_write2_b64 v7, v[0:1], v[12:13] offset0:9 offset1:204
	s_waitcnt lgkmcnt(0)
	s_barrier
	ds_read2_b64 v[12:15], v64 offset1:75
	v_accvgpr_read_b32 v16, a30
	v_mad_u64_u32 v[0:1], s[0:1], s7, v116, v[8:9]
	v_accvgpr_read_b32 v17, a31
	v_mov_b32_e32 v7, v0
	s_waitcnt lgkmcnt(0)
	v_mul_f32_e32 v0, v17, v13
	v_fmac_f32_e32 v0, v16, v12
	s_mov_b32 s0, 0xaa677344
	v_cvt_f64_f32_e32 v[0:1], v0
	s_mov_b32 s1, 0x3f50cdd9
	v_mul_f64 v[0:1], v[0:1], s[0:1]
	v_cvt_f32_f64_e32 v0, v[0:1]
	v_mul_f32_e32 v1, v17, v12
	v_fma_f32 v1, v16, v13, -v1
	v_cvt_f64_f32_e32 v[12:13], v1
	v_mul_f64 v[12:13], v[12:13], s[0:1]
	v_accvgpr_read_b32 v16, a10
	v_cvt_f32_f64_e32 v1, v[12:13]
	v_mad_u64_u32 v[12:13], s[2:3], s4, v16, 0
	v_mov_b32_e32 v8, v13
	v_mad_u64_u32 v[16:17], s[2:3], s5, v16, v[8:9]
	v_mov_b32_e32 v13, v16
	v_lshl_add_u64 v[4:5], v[6:7], 3, v[4:5]
	v_lshl_add_u64 v[12:13], v[12:13], 3, v[4:5]
	v_accvgpr_read_b32 v4, a28
	v_accvgpr_read_b32 v5, a29
	global_store_dwordx2 v[12:13], v[0:1], off
	v_mul_f32_e32 v0, v5, v15
	v_fmac_f32_e32 v0, v4, v14
	v_cvt_f64_f32_e32 v[0:1], v0
	v_mul_f64 v[0:1], v[0:1], s[0:1]
	v_cvt_f32_f64_e32 v0, v[0:1]
	v_mul_f32_e32 v1, v5, v14
	v_fma_f32 v1, v4, v15, -v1
	v_cvt_f64_f32_e32 v[4:5], v1
	v_mul_f64 v[4:5], v[4:5], s[0:1]
	v_cvt_f32_f64_e32 v1, v[4:5]
	ds_read2_b64 v[4:7], v64 offset0:150 offset1:225
	s_mul_i32 s2, s5, 0x4b
	s_mul_hi_u32 s3, s4, 0x4b
	s_add_i32 s3, s3, s2
	s_mul_i32 s2, s4, 0x4b
	s_lshl_b64 s[2:3], s[2:3], 3
	v_accvgpr_read_b32 v14, a26
	v_lshl_add_u64 v[12:13], v[12:13], 0, s[2:3]
	v_accvgpr_read_b32 v15, a27
	global_store_dwordx2 v[12:13], v[0:1], off
	s_waitcnt lgkmcnt(0)
	v_mul_f32_e32 v0, v15, v5
	v_fmac_f32_e32 v0, v14, v4
	v_cvt_f64_f32_e32 v[0:1], v0
	v_mul_f64 v[0:1], v[0:1], s[0:1]
	v_cvt_f32_f64_e32 v0, v[0:1]
	v_mul_f32_e32 v1, v15, v4
	v_fma_f32 v1, v14, v5, -v1
	v_cvt_f64_f32_e32 v[4:5], v1
	v_mul_f64 v[4:5], v[4:5], s[0:1]
	v_cvt_f32_f64_e32 v1, v[4:5]
	v_accvgpr_read_b32 v4, a24
	v_lshl_add_u64 v[12:13], v[12:13], 0, s[2:3]
	v_accvgpr_read_b32 v5, a25
	global_store_dwordx2 v[12:13], v[0:1], off
	v_mul_f32_e32 v0, v5, v7
	v_fmac_f32_e32 v0, v4, v6
	v_cvt_f64_f32_e32 v[0:1], v0
	v_mul_f64 v[0:1], v[0:1], s[0:1]
	v_cvt_f32_f64_e32 v0, v[0:1]
	v_mul_f32_e32 v1, v5, v6
	v_fma_f32 v1, v4, v7, -v1
	ds_read2_b64 v[4:7], v11 offset0:44 offset1:119
	v_cvt_f64_f32_e32 v[14:15], v1
	v_mul_f64 v[14:15], v[14:15], s[0:1]
	v_cvt_f32_f64_e32 v1, v[14:15]
	v_accvgpr_read_b32 v14, a20
	v_lshl_add_u64 v[12:13], v[12:13], 0, s[2:3]
	v_accvgpr_read_b32 v15, a21
	global_store_dwordx2 v[12:13], v[0:1], off
	s_waitcnt lgkmcnt(0)
	v_mul_f32_e32 v0, v15, v5
	v_fmac_f32_e32 v0, v14, v4
	v_cvt_f64_f32_e32 v[0:1], v0
	v_mul_f64 v[0:1], v[0:1], s[0:1]
	v_cvt_f32_f64_e32 v0, v[0:1]
	v_mul_f32_e32 v1, v15, v4
	v_fma_f32 v1, v14, v5, -v1
	v_cvt_f64_f32_e32 v[4:5], v1
	v_mul_f64 v[4:5], v[4:5], s[0:1]
	v_cvt_f32_f64_e32 v1, v[4:5]
	v_accvgpr_read_b32 v4, a22
	v_lshl_add_u64 v[12:13], v[12:13], 0, s[2:3]
	v_accvgpr_read_b32 v5, a23
	global_store_dwordx2 v[12:13], v[0:1], off
	v_mul_f32_e32 v0, v5, v7
	v_fmac_f32_e32 v0, v4, v6
	v_cvt_f64_f32_e32 v[0:1], v0
	v_mul_f64 v[0:1], v[0:1], s[0:1]
	v_cvt_f32_f64_e32 v0, v[0:1]
	v_mul_f32_e32 v1, v5, v6
	v_fma_f32 v1, v4, v7, -v1
	ds_read2_b64 v[4:7], v3 offset0:66 offset1:141
	v_cvt_f64_f32_e32 v[14:15], v1
	v_mul_f64 v[14:15], v[14:15], s[0:1]
	v_cvt_f32_f64_e32 v1, v[14:15]
	;; [unrolled: 30-line block ×3, first 2 shown]
	v_lshl_add_u64 v[12:13], v[12:13], 0, s[2:3]
	v_accvgpr_read_b32 v15, a13
	global_store_dwordx2 v[12:13], v[0:1], off
	v_accvgpr_read_b32 v14, a12
	s_waitcnt lgkmcnt(0)
	v_mul_f32_e32 v0, v15, v5
	v_fmac_f32_e32 v0, v14, v4
	v_cvt_f64_f32_e32 v[0:1], v0
	v_mul_f64 v[0:1], v[0:1], s[0:1]
	v_cvt_f32_f64_e32 v0, v[0:1]
	v_mul_f32_e32 v1, v15, v4
	v_fma_f32 v1, v14, v5, -v1
	v_cvt_f64_f32_e32 v[4:5], v1
	v_mul_f64 v[4:5], v[4:5], s[0:1]
	v_cvt_f32_f64_e32 v1, v[4:5]
	v_accvgpr_read_b32 v4, a8
	v_lshl_add_u64 v[12:13], v[12:13], 0, s[2:3]
	v_accvgpr_read_b32 v5, a9
	global_store_dwordx2 v[12:13], v[0:1], off
	v_mul_f32_e32 v0, v5, v7
	v_fmac_f32_e32 v0, v4, v6
	v_cvt_f64_f32_e32 v[0:1], v0
	v_mul_f64 v[0:1], v[0:1], s[0:1]
	v_cvt_f32_f64_e32 v0, v[0:1]
	v_mul_f32_e32 v1, v5, v6
	v_fma_f32 v1, v4, v7, -v1
	v_cvt_f64_f32_e32 v[14:15], v1
	v_add_u32_e32 v1, 0x1400, v64
	ds_read2_b64 v[4:7], v1 offset0:110 offset1:185
	v_mul_f64 v[14:15], v[14:15], s[0:1]
	v_cvt_f32_f64_e32 v1, v[14:15]
	v_lshl_add_u64 v[12:13], v[12:13], 0, s[2:3]
	v_accvgpr_read_b32 v15, a7
	global_store_dwordx2 v[12:13], v[0:1], off
	v_accvgpr_read_b32 v14, a6
	s_waitcnt lgkmcnt(0)
	v_mul_f32_e32 v0, v15, v5
	v_fmac_f32_e32 v0, v14, v4
	v_cvt_f64_f32_e32 v[0:1], v0
	v_mul_f64 v[0:1], v[0:1], s[0:1]
	v_cvt_f32_f64_e32 v0, v[0:1]
	v_mul_f32_e32 v1, v15, v4
	v_fma_f32 v1, v14, v5, -v1
	v_cvt_f64_f32_e32 v[4:5], v1
	v_mul_f64 v[4:5], v[4:5], s[0:1]
	v_cvt_f32_f64_e32 v1, v[4:5]
	v_lshl_add_u64 v[4:5], v[12:13], 0, s[2:3]
	v_accvgpr_read_b32 v13, a5
	global_store_dwordx2 v[4:5], v[0:1], off
	v_accvgpr_read_b32 v12, a4
	v_mul_f32_e32 v0, v13, v7
	v_fmac_f32_e32 v0, v12, v6
	v_cvt_f64_f32_e32 v[0:1], v0
	v_mul_f64 v[0:1], v[0:1], s[0:1]
	v_cvt_f32_f64_e32 v0, v[0:1]
	v_mul_f32_e32 v1, v13, v6
	v_fma_f32 v1, v12, v7, -v1
	ds_read_b64 v[12:13], v64 offset:7200
	v_cvt_f64_f32_e32 v[6:7], v1
	v_mul_f64 v[6:7], v[6:7], s[0:1]
	v_cvt_f32_f64_e32 v1, v[6:7]
	v_lshl_add_u64 v[4:5], v[4:5], 0, s[2:3]
	v_accvgpr_read_b32 v15, a3
	global_store_dwordx2 v[4:5], v[0:1], off
	v_accvgpr_read_b32 v14, a2
	s_waitcnt lgkmcnt(0)
	v_mul_f32_e32 v0, v15, v13
	v_fmac_f32_e32 v0, v14, v12
	v_cvt_f64_f32_e32 v[0:1], v0
	v_mul_f64 v[0:1], v[0:1], s[0:1]
	v_cvt_f32_f64_e32 v6, v[0:1]
	v_mul_f32_e32 v0, v15, v12
	v_fma_f32 v0, v14, v13, -v0
	v_cvt_f64_f32_e32 v[0:1], v0
	v_mul_f64 v[0:1], v[0:1], s[0:1]
	s_movk_i32 s6, 0x1000
	v_cvt_f32_f64_e32 v7, v[0:1]
	v_lshl_add_u64 v[0:1], v[4:5], 0, s[2:3]
	global_store_dwordx2 v[0:1], v[6:7], off
	s_and_b64 exec, exec, vcc
	s_cbranch_execz .LBB0_23
; %bb.22:
	v_accvgpr_read_b32 v15, a1
	v_accvgpr_read_b32 v14, a0
	global_load_dwordx2 v[12:13], v[14:15], off offset:312
	ds_read2_b64 v[4:7], v64 offset0:39 offset1:114
	v_mov_b32_e32 v8, 0xffffe518
	v_mad_u64_u32 v[0:1], s[8:9], s4, v8, v[0:1]
	s_mulk_i32 s5, 0xe518
	s_sub_i32 s4, s5, s4
	v_add_u32_e32 v1, s4, v1
	s_waitcnt vmcnt(0) lgkmcnt(0)
	v_mul_f32_e32 v8, v5, v13
	v_mul_f32_e32 v13, v4, v13
	v_fmac_f32_e32 v8, v4, v12
	v_fma_f32 v12, v12, v5, -v13
	v_cvt_f64_f32_e32 v[4:5], v8
	v_cvt_f64_f32_e32 v[12:13], v12
	v_mul_f64 v[4:5], v[4:5], s[0:1]
	v_mul_f64 v[12:13], v[12:13], s[0:1]
	v_cvt_f32_f64_e32 v4, v[4:5]
	v_cvt_f32_f64_e32 v5, v[12:13]
	global_store_dwordx2 v[0:1], v[4:5], off
	global_load_dwordx2 v[4:5], v[14:15], off offset:912
	v_lshl_add_u64 v[0:1], v[0:1], 0, s[2:3]
	s_waitcnt vmcnt(0)
	v_mul_f32_e32 v8, v7, v5
	v_mul_f32_e32 v5, v6, v5
	v_fmac_f32_e32 v8, v6, v4
	v_fma_f32 v6, v4, v7, -v5
	v_cvt_f64_f32_e32 v[4:5], v8
	v_cvt_f64_f32_e32 v[6:7], v6
	v_mul_f64 v[4:5], v[4:5], s[0:1]
	v_mul_f64 v[6:7], v[6:7], s[0:1]
	v_cvt_f32_f64_e32 v4, v[4:5]
	v_cvt_f32_f64_e32 v5, v[6:7]
	global_store_dwordx2 v[0:1], v[4:5], off
	global_load_dwordx2 v[12:13], v[14:15], off offset:1512
	ds_read2_b64 v[4:7], v2 offset0:61 offset1:136
	v_lshl_add_u64 v[0:1], v[0:1], 0, s[2:3]
	s_waitcnt vmcnt(0) lgkmcnt(0)
	v_mul_f32_e32 v2, v5, v13
	v_mul_f32_e32 v8, v4, v13
	v_fmac_f32_e32 v2, v4, v12
	v_fma_f32 v8, v12, v5, -v8
	v_cvt_f64_f32_e32 v[4:5], v2
	v_cvt_f64_f32_e32 v[12:13], v8
	v_mul_f64 v[4:5], v[4:5], s[0:1]
	v_mul_f64 v[12:13], v[12:13], s[0:1]
	v_cvt_f32_f64_e32 v4, v[4:5]
	v_cvt_f32_f64_e32 v5, v[12:13]
	global_store_dwordx2 v[0:1], v[4:5], off
	global_load_dwordx2 v[4:5], v[14:15], off offset:2112
	v_lshl_add_u64 v[0:1], v[0:1], 0, s[2:3]
	s_waitcnt vmcnt(0)
	v_mul_f32_e32 v2, v7, v5
	v_mul_f32_e32 v5, v6, v5
	v_fmac_f32_e32 v2, v6, v4
	v_fma_f32 v6, v4, v7, -v5
	v_cvt_f64_f32_e32 v[4:5], v2
	v_cvt_f64_f32_e32 v[6:7], v6
	v_mul_f64 v[4:5], v[4:5], s[0:1]
	v_mul_f64 v[6:7], v[6:7], s[0:1]
	v_cvt_f32_f64_e32 v4, v[4:5]
	v_cvt_f32_f64_e32 v5, v[6:7]
	global_store_dwordx2 v[0:1], v[4:5], off
	global_load_dwordx2 v[12:13], v[14:15], off offset:2712
	ds_read2_b64 v[4:7], v11 offset0:83 offset1:158
	v_lshl_add_u64 v[0:1], v[0:1], 0, s[2:3]
	s_waitcnt vmcnt(0) lgkmcnt(0)
	v_mul_f32_e32 v2, v5, v13
	v_mul_f32_e32 v8, v4, v13
	v_fmac_f32_e32 v2, v4, v12
	v_fma_f32 v8, v12, v5, -v8
	v_cvt_f64_f32_e32 v[4:5], v2
	v_cvt_f64_f32_e32 v[12:13], v8
	v_mul_f64 v[4:5], v[4:5], s[0:1]
	v_mul_f64 v[12:13], v[12:13], s[0:1]
	v_cvt_f32_f64_e32 v4, v[4:5]
	v_cvt_f32_f64_e32 v5, v[12:13]
	global_store_dwordx2 v[0:1], v[4:5], off
	global_load_dwordx2 v[4:5], v[14:15], off offset:3312
	v_lshl_add_u64 v[12:13], v[0:1], 0, s[2:3]
	s_waitcnt vmcnt(0)
	v_mul_f32_e32 v0, v7, v5
	v_mul_f32_e32 v1, v6, v5
	v_fmac_f32_e32 v0, v6, v4
	v_fma_f32 v2, v4, v7, -v1
	v_cvt_f64_f32_e32 v[0:1], v0
	v_cvt_f64_f32_e32 v[4:5], v2
	v_mul_f64 v[0:1], v[0:1], s[0:1]
	v_mul_f64 v[4:5], v[4:5], s[0:1]
	v_cvt_f32_f64_e32 v0, v[0:1]
	v_cvt_f32_f64_e32 v1, v[4:5]
	global_store_dwordx2 v[12:13], v[0:1], off
	global_load_dwordx2 v[4:5], v[14:15], off offset:3912
	ds_read2_b64 v[0:3], v3 offset0:105 offset1:180
	v_add_co_u32_e32 v6, vcc, s6, v14
	v_lshl_add_u64 v[12:13], v[12:13], 0, s[2:3]
	s_nop 0
	v_addc_co_u32_e32 v7, vcc, 0, v15, vcc
	s_waitcnt vmcnt(0) lgkmcnt(0)
	v_mul_f32_e32 v8, v1, v5
	v_mul_f32_e32 v5, v0, v5
	v_fmac_f32_e32 v8, v0, v4
	v_fma_f32 v4, v4, v1, -v5
	v_cvt_f64_f32_e32 v[0:1], v8
	v_cvt_f64_f32_e32 v[4:5], v4
	v_mul_f64 v[0:1], v[0:1], s[0:1]
	v_mul_f64 v[4:5], v[4:5], s[0:1]
	v_cvt_f32_f64_e32 v0, v[0:1]
	v_cvt_f32_f64_e32 v1, v[4:5]
	global_store_dwordx2 v[12:13], v[0:1], off
	global_load_dwordx2 v[0:1], v[6:7], off offset:416
	v_lshl_add_u64 v[4:5], v[12:13], 0, s[2:3]
	s_waitcnt vmcnt(0)
	v_mul_f32_e32 v8, v3, v1
	v_mul_f32_e32 v1, v2, v1
	v_fmac_f32_e32 v8, v2, v0
	v_fma_f32 v2, v0, v3, -v1
	v_cvt_f64_f32_e32 v[0:1], v8
	v_cvt_f64_f32_e32 v[2:3], v2
	v_mul_f64 v[0:1], v[0:1], s[0:1]
	v_mul_f64 v[2:3], v[2:3], s[0:1]
	v_cvt_f32_f64_e32 v0, v[0:1]
	v_cvt_f32_f64_e32 v1, v[2:3]
	global_store_dwordx2 v[4:5], v[0:1], off
	global_load_dwordx2 v[12:13], v[6:7], off offset:1016
	ds_read2_b64 v[0:3], v10 offset0:127 offset1:202
	v_lshl_add_u64 v[4:5], v[4:5], 0, s[2:3]
	s_waitcnt vmcnt(0) lgkmcnt(0)
	v_mul_f32_e32 v8, v1, v13
	v_mul_f32_e32 v10, v0, v13
	v_fmac_f32_e32 v8, v0, v12
	v_fma_f32 v10, v12, v1, -v10
	v_cvt_f64_f32_e32 v[0:1], v8
	v_cvt_f64_f32_e32 v[10:11], v10
	v_mul_f64 v[0:1], v[0:1], s[0:1]
	v_mul_f64 v[10:11], v[10:11], s[0:1]
	v_cvt_f32_f64_e32 v0, v[0:1]
	v_cvt_f32_f64_e32 v1, v[10:11]
	global_store_dwordx2 v[4:5], v[0:1], off
	global_load_dwordx2 v[0:1], v[6:7], off offset:1616
	v_lshl_add_u64 v[4:5], v[4:5], 0, s[2:3]
	s_waitcnt vmcnt(0)
	v_mul_f32_e32 v8, v3, v1
	v_mul_f32_e32 v1, v2, v1
	v_fmac_f32_e32 v8, v2, v0
	v_fma_f32 v2, v0, v3, -v1
	v_cvt_f64_f32_e32 v[0:1], v8
	v_cvt_f64_f32_e32 v[2:3], v2
	v_mul_f64 v[0:1], v[0:1], s[0:1]
	v_mul_f64 v[2:3], v[2:3], s[0:1]
	v_cvt_f32_f64_e32 v0, v[0:1]
	v_cvt_f32_f64_e32 v1, v[2:3]
	global_store_dwordx2 v[4:5], v[0:1], off
	global_load_dwordx2 v[10:11], v[6:7], off offset:2216
	ds_read2_b64 v[0:3], v9 offset0:21 offset1:96
	v_lshl_add_u64 v[4:5], v[4:5], 0, s[2:3]
	s_waitcnt vmcnt(0) lgkmcnt(0)
	v_mul_f32_e32 v8, v1, v11
	v_mul_f32_e32 v9, v0, v11
	v_fmac_f32_e32 v8, v0, v10
	v_fma_f32 v9, v10, v1, -v9
	v_cvt_f64_f32_e32 v[0:1], v8
	v_cvt_f64_f32_e32 v[8:9], v9
	v_mul_f64 v[0:1], v[0:1], s[0:1]
	v_mul_f64 v[8:9], v[8:9], s[0:1]
	v_cvt_f32_f64_e32 v0, v[0:1]
	v_cvt_f32_f64_e32 v1, v[8:9]
	global_store_dwordx2 v[4:5], v[0:1], off
	global_load_dwordx2 v[0:1], v[6:7], off offset:2816
	v_lshl_add_u64 v[4:5], v[4:5], 0, s[2:3]
	s_waitcnt vmcnt(0)
	v_mul_f32_e32 v8, v3, v1
	v_mul_f32_e32 v1, v2, v1
	v_fmac_f32_e32 v8, v2, v0
	v_fma_f32 v2, v0, v3, -v1
	v_cvt_f64_f32_e32 v[0:1], v8
	v_cvt_f64_f32_e32 v[2:3], v2
	v_mul_f64 v[0:1], v[0:1], s[0:1]
	v_mul_f64 v[2:3], v[2:3], s[0:1]
	v_cvt_f32_f64_e32 v0, v[0:1]
	v_cvt_f32_f64_e32 v1, v[2:3]
	global_store_dwordx2 v[4:5], v[0:1], off
	global_load_dwordx2 v[0:1], v[6:7], off offset:3416
	ds_read_b64 v[2:3], v64 offset:7512
	s_waitcnt vmcnt(0) lgkmcnt(0)
	v_mul_f32_e32 v6, v3, v1
	v_mul_f32_e32 v1, v2, v1
	v_fmac_f32_e32 v6, v2, v0
	v_fma_f32 v2, v0, v3, -v1
	v_cvt_f64_f32_e32 v[0:1], v6
	v_cvt_f64_f32_e32 v[2:3], v2
	v_mul_f64 v[0:1], v[0:1], s[0:1]
	v_mul_f64 v[2:3], v[2:3], s[0:1]
	v_cvt_f32_f64_e32 v0, v[0:1]
	v_cvt_f32_f64_e32 v1, v[2:3]
	v_lshl_add_u64 v[2:3], v[4:5], 0, s[2:3]
	global_store_dwordx2 v[2:3], v[0:1], off
.LBB0_23:
	s_endpgm
	.section	.rodata,"a",@progbits
	.p2align	6, 0x0
	.amdhsa_kernel bluestein_single_back_len975_dim1_sp_op_CI_CI
		.amdhsa_group_segment_fixed_size 23400
		.amdhsa_private_segment_fixed_size 0
		.amdhsa_kernarg_size 104
		.amdhsa_user_sgpr_count 2
		.amdhsa_user_sgpr_dispatch_ptr 0
		.amdhsa_user_sgpr_queue_ptr 0
		.amdhsa_user_sgpr_kernarg_segment_ptr 1
		.amdhsa_user_sgpr_dispatch_id 0
		.amdhsa_user_sgpr_kernarg_preload_length 0
		.amdhsa_user_sgpr_kernarg_preload_offset 0
		.amdhsa_user_sgpr_private_segment_size 0
		.amdhsa_uses_dynamic_stack 0
		.amdhsa_enable_private_segment 0
		.amdhsa_system_sgpr_workgroup_id_x 1
		.amdhsa_system_sgpr_workgroup_id_y 0
		.amdhsa_system_sgpr_workgroup_id_z 0
		.amdhsa_system_sgpr_workgroup_info 0
		.amdhsa_system_vgpr_workitem_id 0
		.amdhsa_next_free_vgpr 360
		.amdhsa_next_free_sgpr 54
		.amdhsa_accum_offset 256
		.amdhsa_reserve_vcc 1
		.amdhsa_float_round_mode_32 0
		.amdhsa_float_round_mode_16_64 0
		.amdhsa_float_denorm_mode_32 3
		.amdhsa_float_denorm_mode_16_64 3
		.amdhsa_dx10_clamp 1
		.amdhsa_ieee_mode 1
		.amdhsa_fp16_overflow 0
		.amdhsa_tg_split 0
		.amdhsa_exception_fp_ieee_invalid_op 0
		.amdhsa_exception_fp_denorm_src 0
		.amdhsa_exception_fp_ieee_div_zero 0
		.amdhsa_exception_fp_ieee_overflow 0
		.amdhsa_exception_fp_ieee_underflow 0
		.amdhsa_exception_fp_ieee_inexact 0
		.amdhsa_exception_int_div_zero 0
	.end_amdhsa_kernel
	.text
.Lfunc_end0:
	.size	bluestein_single_back_len975_dim1_sp_op_CI_CI, .Lfunc_end0-bluestein_single_back_len975_dim1_sp_op_CI_CI
                                        ; -- End function
	.section	.AMDGPU.csdata,"",@progbits
; Kernel info:
; codeLenInByte = 31544
; NumSgprs: 60
; NumVgprs: 256
; NumAgprs: 104
; TotalNumVgprs: 360
; ScratchSize: 0
; MemoryBound: 0
; FloatMode: 240
; IeeeMode: 1
; LDSByteSize: 23400 bytes/workgroup (compile time only)
; SGPRBlocks: 7
; VGPRBlocks: 44
; NumSGPRsForWavesPerEU: 60
; NumVGPRsForWavesPerEU: 360
; AccumOffset: 256
; Occupancy: 1
; WaveLimiterHint : 1
; COMPUTE_PGM_RSRC2:SCRATCH_EN: 0
; COMPUTE_PGM_RSRC2:USER_SGPR: 2
; COMPUTE_PGM_RSRC2:TRAP_HANDLER: 0
; COMPUTE_PGM_RSRC2:TGID_X_EN: 1
; COMPUTE_PGM_RSRC2:TGID_Y_EN: 0
; COMPUTE_PGM_RSRC2:TGID_Z_EN: 0
; COMPUTE_PGM_RSRC2:TIDIG_COMP_CNT: 0
; COMPUTE_PGM_RSRC3_GFX90A:ACCUM_OFFSET: 63
; COMPUTE_PGM_RSRC3_GFX90A:TG_SPLIT: 0
	.text
	.p2alignl 6, 3212836864
	.fill 256, 4, 3212836864
	.type	__hip_cuid_55593bddc66ab7c4,@object ; @__hip_cuid_55593bddc66ab7c4
	.section	.bss,"aw",@nobits
	.globl	__hip_cuid_55593bddc66ab7c4
__hip_cuid_55593bddc66ab7c4:
	.byte	0                               ; 0x0
	.size	__hip_cuid_55593bddc66ab7c4, 1

	.ident	"AMD clang version 19.0.0git (https://github.com/RadeonOpenCompute/llvm-project roc-6.4.0 25133 c7fe45cf4b819c5991fe208aaa96edf142730f1d)"
	.section	".note.GNU-stack","",@progbits
	.addrsig
	.addrsig_sym __hip_cuid_55593bddc66ab7c4
	.amdgpu_metadata
---
amdhsa.kernels:
  - .agpr_count:     104
    .args:
      - .actual_access:  read_only
        .address_space:  global
        .offset:         0
        .size:           8
        .value_kind:     global_buffer
      - .actual_access:  read_only
        .address_space:  global
        .offset:         8
        .size:           8
        .value_kind:     global_buffer
      - .actual_access:  read_only
        .address_space:  global
        .offset:         16
        .size:           8
        .value_kind:     global_buffer
      - .actual_access:  read_only
        .address_space:  global
        .offset:         24
        .size:           8
        .value_kind:     global_buffer
      - .actual_access:  read_only
        .address_space:  global
        .offset:         32
        .size:           8
        .value_kind:     global_buffer
      - .offset:         40
        .size:           8
        .value_kind:     by_value
      - .address_space:  global
        .offset:         48
        .size:           8
        .value_kind:     global_buffer
      - .address_space:  global
        .offset:         56
        .size:           8
        .value_kind:     global_buffer
      - .address_space:  global
        .offset:         64
        .size:           8
        .value_kind:     global_buffer
      - .address_space:  global
        .offset:         72
        .size:           8
        .value_kind:     global_buffer
      - .offset:         80
        .size:           4
        .value_kind:     by_value
      - .address_space:  global
        .offset:         88
        .size:           8
        .value_kind:     global_buffer
      - .address_space:  global
        .offset:         96
        .size:           8
        .value_kind:     global_buffer
    .group_segment_fixed_size: 23400
    .kernarg_segment_align: 8
    .kernarg_segment_size: 104
    .language:       OpenCL C
    .language_version:
      - 2
      - 0
    .max_flat_workgroup_size: 117
    .name:           bluestein_single_back_len975_dim1_sp_op_CI_CI
    .private_segment_fixed_size: 0
    .sgpr_count:     60
    .sgpr_spill_count: 0
    .symbol:         bluestein_single_back_len975_dim1_sp_op_CI_CI.kd
    .uniform_work_group_size: 1
    .uses_dynamic_stack: false
    .vgpr_count:     360
    .vgpr_spill_count: 0
    .wavefront_size: 64
amdhsa.target:   amdgcn-amd-amdhsa--gfx950
amdhsa.version:
  - 1
  - 2
...

	.end_amdgpu_metadata
